;; amdgpu-corpus repo=ROCm/aiter kind=harvested arch=n/a opt=n/a

/root/src/amdgpu-assembly/repos/ROCm__aiter/hsa/gfx950/i8gemm/I8gemm_bf16_perTokenI8_BpreShuffle_128x128.co:	file format elf64-amdgpu

Disassembly of section .text:

0000000000002000 <_ZN5aiter42I8gemm_bf16_perTokenI8_BpreShuffle_128x128E>:
	s_and_b32 s1, s1, 0xffff                                   // 000000002000: 8601FF01 0000FFFF
	s_load_dwordx2 s[16:17], s[0:1], 0x0                       // 000000002008: C0060400 00000000
	s_load_dwordx2 s[4:5], s[0:1], 0x10                        // 000000002010: C0060100 00000010
	s_load_dwordx2 s[8:9], s[0:1], 0x20                        // 000000002018: C0060200 00000020
	s_load_dwordx2 s[20:21], s[0:1], 0x30                      // 000000002020: C0060500 00000030
	s_load_dwordx2 s[24:25], s[0:1], 0x40                      // 000000002028: C0060600 00000040
	s_load_dwordx2 s[28:29], s[0:1], 0x50                      // 000000002030: C0060700 00000050
	s_load_dword s32, s[0:1], 0x60                             // 000000002038: C0020800 00000060
	s_load_dword s33, s[0:1], 0x70                             // 000000002040: C0020840 00000070
	s_load_dword s34, s[0:1], 0x80                             // 000000002048: C0020880 00000080
	s_load_dword s35, s[0:1], 0x90                             // 000000002050: C00208C0 00000090
	s_load_dword s36, s[0:1], 0xa0                             // 000000002058: C0020900 000000A0
	s_load_dword s37, s[0:1], 0xb0                             // 000000002060: C0020940 000000B0
	s_load_dword s38, s[0:1], 0xc0                             // 000000002068: C0020980 000000C0
	v_lshrrev_b32_e32 v1, 10, v0                               // 000000002070: 2002008A
	v_lshrrev_b32_e32 v2, 10, v1                               // 000000002074: 2004028A
	v_and_b32_e32 v2, 0x3ff, v2                                // 000000002078: 260404FF 000003FF
	v_and_b32_e32 v1, 0x3ff, v1                                // 000000002080: 260202FF 000003FF
	v_and_b32_e32 v0, 0x3ff, v0                                // 000000002088: 260000FF 000003FF
	v_lshrrev_b32_e32 v3, 6, v0                                // 000000002090: 20060086
	v_and_b32_e32 v0, 63, v0                                   // 000000002094: 260000BF
	s_mov_b32 s41, s2                                          // 000000002098: BEA90002
	s_mov_b32 s42, s3                                          // 00000000209C: BEAA0003
	s_waitcnt lgkmcnt(0)                                       // 0000000020A0: BF8CC07F
	v_readfirstlane_b32 s44, v3                                // 0000000020A4: 7E580503
	s_mov_b32 s6, 0x80000000                                   // 0000000020A8: BE8600FF 80000000
	s_mov_b32 s10, 0x80000000                                  // 0000000020B0: BE8A00FF 80000000
	s_mov_b32 s22, 0x80000000                                  // 0000000020B8: BE9600FF 80000000
	s_mov_b32 s26, 0x80000000                                  // 0000000020C0: BE9A00FF 80000000
	s_mov_b32 s30, 0x80000000                                  // 0000000020C8: BE9E00FF 80000000
	s_mov_b32 s7, 0x20000                                      // 0000000020D0: BE8700FF 00020000
	s_mov_b32 s11, 0x20000                                     // 0000000020D8: BE8B00FF 00020000
	s_mov_b32 s23, 0x20000                                     // 0000000020E0: BE9700FF 00020000
	s_mov_b32 s27, 0x20000                                     // 0000000020E8: BE9B00FF 00020000
	s_mov_b32 s31, 0x20000                                     // 0000000020F0: BE9F00FF 00020000
	s_and_b32 s5, s5, 0xffff                                   // 0000000020F8: 8605FF05 0000FFFF
	s_and_b32 s9, s9, 0xffff                                   // 000000002100: 8609FF09 0000FFFF
	s_and_b32 s21, s21, 0xffff                                 // 000000002108: 8615FF15 0000FFFF
	s_and_b32 s25, s25, 0xffff                                 // 000000002110: 8619FF19 0000FFFF
	s_and_b32 s29, s29, 0xffff                                 // 000000002118: 861DFF1D 0000FFFF
	s_or_b32 s5, s5, 0x40000                                   // 000000002120: 8705FF05 00040000
	s_or_b32 s9, s9, 0x40000                                   // 000000002128: 8709FF09 00040000
	s_or_b32 s21, s21, 0x40000                                 // 000000002130: 8715FF15 00040000
	s_or_b32 s25, s25, 0x40000                                 // 000000002138: 8719FF19 00040000
	s_or_b32 s29, s29, 0x40000                                 // 000000002140: 871DFF1D 00040000
	s_mov_b32 s56, s41                                         // 000000002148: BEB80029
	s_mov_b32 s57, s38                                         // 00000000214C: BEB90026
	v_cvt_f32_u32_e32 v4, s57                                  // 000000002150: 7E080C39
	s_sub_i32 s47, 0, s57                                      // 000000002154: 81AF3980
	v_rcp_iflag_f32_e32 v4, v4                                 // 000000002158: 7E084704
	s_nop 0                                                    // 00000000215C: BF800000
	v_mul_f32_e32 v4, 0x4f7ffffe, v4                           // 000000002160: 0A0808FF 4F7FFFFE
	v_cvt_u32_f32_e32 v4, v4                                   // 000000002168: 7E080F04
	v_mul_lo_u32 v5, s47, v4                                   // 00000000216C: D2850005 0002082F
	v_mul_hi_u32 v5, v4, v5                                    // 000000002174: D2860005 00020B04
	v_add_u32_e32 v4, v4, v5                                   // 00000000217C: 68080B04
	v_mul_hi_u32 v4, s56, v4                                   // 000000002180: D2860004 00020838
	v_mul_lo_u32 v5, v4, s57                                   // 000000002188: D2850005 00007304
	v_sub_u32_e32 v7, s56, v5                                  // 000000002190: 6A0E0A38
	v_add_u32_e32 v6, 1, v4                                    // 000000002194: 680C0881
	v_cmp_le_u32_e32 vcc, s57, v7                              // 000000002198: 7D960E39
	v_subrev_u32_e32 v5, s57, v7                               // 00000000219C: 6C0A0E39
	s_nop 0                                                    // 0000000021A0: BF800000
	v_cndmask_b32_e32 v4, v4, v6, vcc                          // 0000000021A4: 00080D04
	v_cndmask_b32_e32 v7, v7, v5, vcc                          // 0000000021A8: 000E0B07
	v_add_u32_e32 v5, 1, v4                                    // 0000000021AC: 680A0881
	v_cmp_le_u32_e32 vcc, s57, v7                              // 0000000021B0: 7D960E39
	s_nop 1                                                    // 0000000021B4: BF800001
	v_cndmask_b32_e32 v7, v4, v5, vcc                          // 0000000021B8: 000E0B04
	s_nop 3                                                    // 0000000021BC: BF800003
	v_readfirstlane_b32 s58, v7                                // 0000000021C0: 7E740507
	s_nop 3                                                    // 0000000021C4: BF800003
	s_mov_b32 s41, s58                                         // 0000000021C8: BEA9003A
	s_mul_i32 s47, s41, s38                                    // 0000000021CC: 922F2629
	s_sub_u32 s75, s56, s47                                    // 0000000021D0: 80CB2F38
	s_mov_b32 s56, s34                                         // 0000000021D4: BEB80022
	s_mov_b32 s57, s38                                         // 0000000021D8: BEB90026
	v_cvt_f32_u32_e32 v4, s57                                  // 0000000021DC: 7E080C39
	s_sub_i32 s47, 0, s57                                      // 0000000021E0: 81AF3980
	v_rcp_iflag_f32_e32 v4, v4                                 // 0000000021E4: 7E084704
	s_nop 0                                                    // 0000000021E8: BF800000
	v_mul_f32_e32 v4, 0x4f7ffffe, v4                           // 0000000021EC: 0A0808FF 4F7FFFFE
	v_cvt_u32_f32_e32 v4, v4                                   // 0000000021F4: 7E080F04
	v_mul_lo_u32 v5, s47, v4                                   // 0000000021F8: D2850005 0002082F
	v_mul_hi_u32 v5, v4, v5                                    // 000000002200: D2860005 00020B04
	v_add_u32_e32 v4, v4, v5                                   // 000000002208: 68080B04
	v_mul_hi_u32 v4, s56, v4                                   // 00000000220C: D2860004 00020838
	v_mul_lo_u32 v5, v4, s57                                   // 000000002214: D2850005 00007304
	v_sub_u32_e32 v7, s56, v5                                  // 00000000221C: 6A0E0A38
	v_add_u32_e32 v6, 1, v4                                    // 000000002220: 680C0881
	v_cmp_le_u32_e32 vcc, s57, v7                              // 000000002224: 7D960E39
	v_subrev_u32_e32 v5, s57, v7                               // 000000002228: 6C0A0E39
	s_nop 0                                                    // 00000000222C: BF800000
	v_cndmask_b32_e32 v4, v4, v6, vcc                          // 000000002230: 00080D04
	v_cndmask_b32_e32 v7, v7, v5, vcc                          // 000000002234: 000E0B07
	v_add_u32_e32 v5, 1, v4                                    // 000000002238: 680A0881
	v_cmp_le_u32_e32 vcc, s57, v7                              // 00000000223C: 7D960E39
	s_nop 1                                                    // 000000002240: BF800001
	v_cndmask_b32_e32 v7, v4, v5, vcc                          // 000000002244: 000E0B04
	s_nop 3                                                    // 000000002248: BF800003
	v_readfirstlane_b32 s58, v7                                // 00000000224C: 7E740507
	s_nop 3                                                    // 000000002250: BF800003
	s_add_u32 s58, 0x7f, s58                                   // 000000002254: 803A3AFF 0000007F
	s_lshr_b32 s58, s58, 7                                     // 00000000225C: 8F3A873A
	s_lshl_b32 s76, s58, 7                                     // 000000002260: 8E4C873A
	s_mul_i32 s48, s76, s75                                    // 000000002264: 92304B4C
	s_sub_i32 s47, s34, s48                                    // 000000002268: 81AF3022
	s_cmp_lt_i32 s47, s76                                      // 00000000226C: BF044C2F
	s_cselect_b32 s34, s47, s76                                // 000000002270: 85224C2F
	s_mul_i32 s47, s42, 0x80                                   // 000000002274: 922FFF2A 00000080
	s_mul_i32 s48, s47, s37                                    // 00000000227C: 9230252F
	s_mul_hi_u32 s49, s47, s37                                 // 000000002280: 9631252F
	s_add_u32 s16, s16, s48                                    // 000000002284: 80103010
	s_addc_u32 s17, s17, s49                                   // 000000002288: 82113111
	s_mul_i32 s47, s41, 0x80                                   // 00000000228C: 922FFF29 00000080
	s_mul_i32 s48, s47, 2                                      // 000000002294: 9230822F
	s_mul_hi_u32 s49, s47, 2                                   // 000000002298: 9631822F
	s_add_u32 s16, s16, s48                                    // 00000000229C: 80103010
	s_addc_u32 s17, s17, s49                                   // 0000000022A0: 82113111
	s_mov_b32 s80, s16                                         // 0000000022A4: BED00010
	s_mov_b32 s81, s17                                         // 0000000022A8: BED10011
	s_mul_i32 s47, s42, 0x80                                   // 0000000022AC: 922FFF2A 00000080
	s_sub_i32 s48, s32, s47                                    // 0000000022B4: 81B02F20
	s_cmp_lt_u32 s48, 0x80                                     // 0000000022B8: BF0AFF30 00000080
	s_cselect_b32 s47, s48, 0x80                               // 0000000022C0: 852FFF30 00000080
	s_mul_i32 s48, s47, s37                                    // 0000000022C8: 9230252F
	s_mov_b32 s18, s48                                         // 0000000022CC: BE920030
	s_mov_b32 s82, 0x80000000                                  // 0000000022D0: BED200FF 80000000
	s_mov_b32 s19, 0x20000                                     // 0000000022D8: BE9300FF 00020000
	s_and_b32 s17, s17, 0xffff                                 // 0000000022E0: 8611FF11 0000FFFF
	s_and_b32 s81, s81, 0xffff                                 // 0000000022E8: 8651FF51 0000FFFF
	s_or_b32 s17, s17, 0x40000                                 // 0000000022F0: 8711FF11 00040000
	s_mov_b32 s45, 0x7060302                                   // 0000000022F8: BEAD00FF 07060302
	v_mov_b32_e32 v13, 0xffff0000                              // 000000002300: 7E1A02FF FFFF0000
	v_mov_b32_e32 v14, 0x7fff0000                              // 000000002308: 7E1C02FF 7FFF0000
	v_mov_b32_e32 v15, 0x7fff                                  // 000000002310: 7E1E02FF 00007FFF
	s_mul_i32 s47, 0x80, s41                                   // 000000002318: 922F29FF 00000080
	s_mul_hi_u32 s48, 4, s47                                   // 000000002320: 96302F84
	s_add_u32 s29, s29, s48                                    // 000000002324: 801D301D
	s_mul_i32 s48, 4, s47                                      // 000000002328: 92302F84
	s_add_u32 s28, s28, s48                                    // 00000000232C: 801C301C
	s_addc_u32 s29, s29, 0                                     // 000000002330: 821D801D
	s_sub_i32 s48, s33, s47                                    // 000000002334: 81B02F21
	s_cmp_lt_u32 s48, 0x80                                     // 000000002338: BF0AFF30 00000080
	s_cselect_b32 s47, s48, 0x80                               // 000000002340: 852FFF30 00000080
	s_mul_i32 s48, 4, s47                                      // 000000002348: 92302F84
	s_mov_b32 s30, s48                                         // 00000000234C: BE9E0030
	s_mov_b32 s31, 0x20000                                     // 000000002350: BE9F00FF 00020000
	v_lshrrev_b32_e32 v4, 4, v0                                // 000000002358: 20080084
	v_lshlrev_b32_e32 v4, 4, v4                                // 00000000235C: 24080884
	s_mul_i32 s49, s44, 0x80                                   // 000000002360: 9231FF2C 00000080
	v_add_u32_e64 v182, v4, s49                                // 000000002368: D13400B6 00006304
	v_add_u32_e64 v183, v182, 64                               // 000000002370: D13400B7 000181B6
	buffer_load_dwordx4 v[184:187], v182, s[28:31], 0 offen    // 000000002378: E05C1000 8007B8B6
	buffer_load_dwordx4 v[188:191], v183, s[28:31], 0 offen    // 000000002380: E05C1000 8007BCB7
	s_mul_i32 s47, 0x80, s42                                   // 000000002388: 922F2AFF 00000080
	s_mul_hi_u32 s48, 4, s47                                   // 000000002390: 96302F84
	s_add_u32 s21, s21, s48                                    // 000000002394: 80153015
	s_mul_i32 s48, 4, s47                                      // 000000002398: 92302F84
	s_add_u32 s20, s20, s48                                    // 00000000239C: 80143014
	s_addc_u32 s21, s21, 0                                     // 0000000023A0: 82158015
	s_sub_i32 s48, s32, s47                                    // 0000000023A4: 81B02F20
	s_cmp_lt_u32 s48, 0x80                                     // 0000000023A8: BF0AFF30 00000080
	s_cselect_b32 s47, s48, 0x80                               // 0000000023B0: 852FFF30 00000080
	s_mul_i32 s48, 4, s47                                      // 0000000023B8: 92302F84
	s_mov_b32 s22, s48                                         // 0000000023BC: BE960030
	s_mov_b32 s23, 0x20000                                     // 0000000023C0: BE9700FF 00020000
	v_and_b32_e64 v178, v0, 15                                 // 0000000023C8: D11300B2 00011F00
	v_lshlrev_b32_e32 v178, 2, v178                            // 0000000023D0: 25656482
	buffer_load_dword v154, v178, s[20:23], 0 offen            // 0000000023D4: E0501000 80059AB2
	buffer_load_dword v155, v178, s[20:23], 0 offen offset:64  // 0000000023DC: E0501040 80059BB2
	buffer_load_dword v156, v178, s[20:23], 0 offen offset:128 // 0000000023E4: E0501080 80059CB2
	buffer_load_dword v157, v178, s[20:23], 0 offen offset:192 // 0000000023EC: E05010C0 80059DB2
	buffer_load_dword v158, v178, s[20:23], 0 offen offset:256 // 0000000023F4: E0501100 80059EB2
	buffer_load_dword v159, v178, s[20:23], 0 offen offset:320 // 0000000023FC: E0501140 80059FB2
	buffer_load_dword v160, v178, s[20:23], 0 offen offset:384 // 000000002404: E0501180 8005A0B2
	buffer_load_dword v161, v178, s[20:23], 0 offen offset:448 // 00000000240C: E05011C0 8005A1B2
	s_mul_i32 s47, 0x80, s41                                   // 000000002414: 922F29FF 00000080
	s_mul_hi_u32 s48, 4, s47                                   // 00000000241C: 96302F84
	s_add_u32 s25, s25, s48                                    // 000000002420: 80193019
	s_mul_i32 s48, 4, s47                                      // 000000002424: 92302F84
	s_add_u32 s24, s24, s48                                    // 000000002428: 80183018
	s_addc_u32 s25, s25, 0                                     // 00000000242C: 82198019
	s_sub_i32 s48, s33, s47                                    // 000000002430: 81B02F21
	s_cmp_lt_u32 s48, 0x80                                     // 000000002434: BF0AFF30 00000080
	s_cselect_b32 s47, s48, 0x80                               // 00000000243C: 852FFF30 00000080
	s_mul_i32 s48, 4, s47                                      // 000000002444: 92302F84
	s_mov_b32 s26, s48                                         // 000000002448: BE9A0030
	s_mov_b32 s27, 0x20000                                     // 00000000244C: BE9B00FF 00020000
	v_lshrrev_b32_e32 v4, 4, v0                                // 000000002454: 20080084
	v_lshlrev_b32_e32 v4, 4, v4                                // 000000002458: 24080884
	s_mul_i32 s49, s44, 0x80                                   // 00000000245C: 9231FF2C 00000080
	v_add_u32_e64 v180, v4, s49                                // 000000002464: D13400B4 00006304
	v_add_u32_e64 v181, v180, 64                               // 00000000246C: D13400B5 000181B4
	buffer_load_dwordx4 v[170:173], v180, s[24:27], 0 offen    // 000000002474: E05C1000 8006AAB4
	buffer_load_dwordx4 v[174:177], v181, s[24:27], 0 offen    // 00000000247C: E05C1000 8006AEB5
	v_lshrrev_b32_e32 v4, 5, v0                                // 000000002484: 20080085
	v_lshlrev_b32_e32 v4, 2, v4                                // 000000002488: 24080882
	v_mul_i32_i24_e32 v4, s35, v4                              // 00000000248C: 0C080823
	v_and_b32_e32 v34, 31, v0                                  // 000000002490: 2644009F
	v_lshlrev_b32_e32 v34, 2, v34                              // 000000002494: 24444482
	s_mul_i32 s47, 0x80, s42                                   // 000000002498: 922F2AFF 00000080
	s_sub_i32 s48, s32, s47                                    // 0000000024A0: 81B02F20
	s_cmp_lt_u32 s48, 0x80                                     // 0000000024A4: BF0AFF30 00000080
	s_cselect_b32 s48, s48, 0x80                               // 0000000024AC: 8530FF30 00000080
	s_mul_i32 s49, s35, s47                                    // 0000000024B4: 92312F23
	s_mul_hi_u32 s47, s35, s47                                 // 0000000024B8: 962F2F23
	s_add_u32 s4, s4, s49                                      // 0000000024BC: 80043104
	s_addc_u32 s5, s5, s47                                     // 0000000024C0: 82052F05
	s_mul_i32 s47, s35, s48                                    // 0000000024C4: 922F3023
	s_mov_b32 s6, s47                                          // 0000000024C8: BE86002F
	s_mov_b32 s7, 0x20000                                      // 0000000024CC: BE8700FF 00020000
	s_mul_i32 s48, s76, s75                                    // 0000000024D4: 92304B4C
	s_add_u32 s4, s48, s4                                      // 0000000024D8: 80040430
	s_addc_u32 s5, 0, s5                                       // 0000000024DC: 82050580
	s_sub_u32 s6, s6, s48                                      // 0000000024E0: 80863006
	s_mul_i32 s47, s35, s44                                    // 0000000024E4: 922F2C23
	v_add3_u32 v34, v4, v34, s47                               // 0000000024E8: D1FF0022 00BE4504
	s_lshl_b32 s47, s35, 3                                     // 0000000024F0: 8E2F8323
	v_add_u32_e32 v35, s47, v34                                // 0000000024F4: 6846442F
	v_add_u32_e32 v36, s47, v35                                // 0000000024F8: 6848462F
	v_add_u32_e32 v37, s47, v36                                // 0000000024FC: 684A482F
	v_add_u32_e32 v38, s47, v37                                // 000000002500: 684C4A2F
	v_add_u32_e32 v39, s47, v38                                // 000000002504: 684E4C2F
	v_add_u32_e32 v40, s47, v39                                // 000000002508: 68504E2F
	v_add_u32_e32 v41, s47, v40                                // 00000000250C: 6852502F
	v_add_u32_e32 v42, s47, v41                                // 000000002510: 6854522F
	v_add_u32_e32 v43, s47, v42                                // 000000002514: 6856542F
	v_add_u32_e32 v44, s47, v43                                // 000000002518: 6858562F
	v_add_u32_e32 v45, s47, v44                                // 00000000251C: 685A582F
	v_add_u32_e32 v46, s47, v45                                // 000000002520: 685C5A2F
	v_add_u32_e32 v47, s47, v46                                // 000000002524: 685E5C2F
	v_add_u32_e32 v48, s47, v47                                // 000000002528: 68605E2F
	v_add_u32_e32 v49, s47, v48                                // 00000000252C: 6862602F
	s_mov_b32 s51, 0x80                                        // 000000002530: BEB300FF 00000080
	s_mov_b32 s47, 0x80                                        // 000000002538: BEAF00FF 00000080
	s_lshr_b32 s47, s47, 2                                     // 000000002540: 8F2F822F
	s_mul_i32 s47, s47, 32                                     // 000000002544: 922FA02F
	s_mov_b32 s48, 8                                           // 000000002548: BEB00088
	s_add_u32 s47, s47, s48                                    // 00000000254C: 802F302F
	v_lshrrev_b32_e32 v4, 4, v0                                // 000000002550: 20080084
	v_and_b32_e32 v5, 15, v0                                   // 000000002554: 260A008F
	v_and_b32_e32 v6, 3, v5                                    // 000000002558: 260C0A83
	v_lshrrev_b32_e32 v7, 2, v5                                // 00000000255C: 200E0A82
	v_lshlrev_b32_e32 v4, 2, v4                                // 000000002560: 24080882
	v_mul_lo_u32 v6, v6, s47                                   // 000000002564: D2850006 00005F06
	v_lshlrev_b32_e32 v7, 5, v7                                // 00000000256C: 240E0E85
	v_add_u32_e32 v4, v4, v6                                   // 000000002570: 68080D04
	v_add_u32_e32 v4, v4, v7                                   // 000000002574: 68080F04
	v_lshlrev_b32_e32 v50, 2, v4                               // 000000002578: 24640882
	s_mul_i32 s47, 0x1020, s44                                 // 00000000257C: 922F2CFF 00001020
	s_add_u32 s53, 0, s47                                      // 000000002584: 80352F80
	s_add_u32 s54, 0x4080, s53                                 // 000000002588: 803635FF 00004080
	s_add_u32 s55, 0x4080, s54                                 // 000000002590: 803736FF 00004080
	s_mov_b32 s52, 0x800                                       // 000000002598: BEB400FF 00000800
	s_mul_i32 s46, 0x80, s41                                   // 0000000025A0: 922E29FF 00000080
	s_sub_i32 s48, s33, s46                                    // 0000000025A8: 81B02E21
	s_cmp_lt_u32 s48, 0x80                                     // 0000000025AC: BF0AFF30 00000080
	s_cselect_b32 s47, s48, 0x80                               // 0000000025B4: 852FFF30 00000080
	s_mul_i32 s48, s36, s46                                    // 0000000025BC: 92302E24
	s_mul_hi_u32 s49, s36, s46                                 // 0000000025C0: 96312E24
	s_add_u32 s8, s8, s48                                      // 0000000025C4: 80083008
	s_addc_u32 s9, s9, s49                                     // 0000000025C8: 82093109
	s_mul_i32 s48, s36, s47                                    // 0000000025CC: 92302F24
	s_mov_b32 s10, s48                                         // 0000000025D0: BE8A0030
	s_mov_b32 s11, 0x20000                                     // 0000000025D4: BE8B00FF 00020000
	s_lshr_b32 s48, s76, 7                                     // 0000000025DC: 8F30874C
	s_mul_i32 s47, s52, s75                                    // 0000000025E0: 922F4B34
	s_mul_i32 s47, s48, s47                                    // 0000000025E4: 922F2F30
	s_add_u32 s8, s47, s8                                      // 0000000025E8: 8008082F
	s_addc_u32 s9, 0, s9                                       // 0000000025EC: 82090980
	s_sub_u32 s10, s10, s47                                    // 0000000025F0: 808A2F0A
	s_lshl_b32 s47, s44, 5                                     // 0000000025F4: 8E2F852C
	s_mul_i32 s47, s36, s47                                    // 0000000025F8: 922F2F24
	v_lshlrev_b32_e32 v52, 4, v0                               // 0000000025FC: 24680084
	v_add_u32_e32 v52, s47, v52                                // 000000002600: 6868682F
	s_mov_b32 s47, 0x400                                       // 000000002604: BEAF00FF 00000400
	v_add_u32_e64 v53, v52, s47                                // 00000000260C: D1340035 00005F34
	s_mul_i32 s47, s36, 16                                     // 000000002614: 922F9024
	v_add_u32_e64 v54, v52, s47                                // 000000002618: D1340036 00005F34
	v_add_u32_e64 v55, v53, s47                                // 000000002620: D1340037 00005F35
	s_add_u32 m0, 0, s53                                       // 000000002628: 807C3580
	buffer_load_dword v34, s[4:7], 0 offen lds                 // 00000000262C: E0511000 80010022
	s_add_u32 m0, 0x100, s53                                   // 000000002634: 807C35FF 00000100
	buffer_load_dword v35, s[4:7], 0 offen lds                 // 00000000263C: E0511000 80010023
	s_add_u32 m0, 0x200, s53                                   // 000000002644: 807C35FF 00000200
	buffer_load_dword v36, s[4:7], 0 offen lds                 // 00000000264C: E0511000 80010024
	s_add_u32 m0, 0x300, s53                                   // 000000002654: 807C35FF 00000300
	buffer_load_dword v37, s[4:7], 0 offen lds                 // 00000000265C: E0511000 80010025
	s_add_u32 m0, 0x400, s53                                   // 000000002664: 807C35FF 00000400
	buffer_load_dword v38, s[4:7], 0 offen lds                 // 00000000266C: E0511000 80010026
	s_add_u32 m0, 0x500, s53                                   // 000000002674: 807C35FF 00000500
	buffer_load_dword v39, s[4:7], 0 offen lds                 // 00000000267C: E0511000 80010027
	s_add_u32 m0, 0x600, s53                                   // 000000002684: 807C35FF 00000600
	buffer_load_dword v40, s[4:7], 0 offen lds                 // 00000000268C: E0511000 80010028
	s_add_u32 m0, 0x700, s53                                   // 000000002694: 807C35FF 00000700
	buffer_load_dword v41, s[4:7], 0 offen lds                 // 00000000269C: E0511000 80010029
	s_add_u32 m0, 0x800, s53                                   // 0000000026A4: 807C35FF 00000800
	buffer_load_dword v42, s[4:7], 0 offen lds                 // 0000000026AC: E0511000 8001002A
	s_add_u32 m0, 0x900, s53                                   // 0000000026B4: 807C35FF 00000900
	buffer_load_dword v43, s[4:7], 0 offen lds                 // 0000000026BC: E0511000 8001002B
	s_add_u32 m0, 0xa00, s53                                   // 0000000026C4: 807C35FF 00000A00
	buffer_load_dword v44, s[4:7], 0 offen lds                 // 0000000026CC: E0511000 8001002C
	s_add_u32 m0, 0xb00, s53                                   // 0000000026D4: 807C35FF 00000B00
	buffer_load_dword v45, s[4:7], 0 offen lds                 // 0000000026DC: E0511000 8001002D
	s_add_u32 m0, 0xc00, s53                                   // 0000000026E4: 807C35FF 00000C00
	buffer_load_dword v46, s[4:7], 0 offen lds                 // 0000000026EC: E0511000 8001002E
	s_add_u32 m0, 0xd00, s53                                   // 0000000026F4: 807C35FF 00000D00
	buffer_load_dword v47, s[4:7], 0 offen lds                 // 0000000026FC: E0511000 8001002F
	s_add_u32 m0, 0xe00, s53                                   // 000000002704: 807C35FF 00000E00
	buffer_load_dword v48, s[4:7], 0 offen lds                 // 00000000270C: E0511000 80010030
	s_add_u32 m0, 0xf00, s53                                   // 000000002714: 807C35FF 00000F00
	buffer_load_dword v49, s[4:7], 0 offen lds                 // 00000000271C: E0511000 80010031
	s_mov_b32 s50, 0                                           // 000000002724: BEB20080
	s_add_u32 s47, 0x80, s50                                   // 000000002728: 802F32FF 00000080
	s_cmp_lt_u32 s47, s34                                      // 000000002730: BF0A222F
	s_cselect_b32 s51, s51, 0                                  // 000000002734: 85338033
	s_add_u32 s4, s51, s4                                      // 000000002738: 80040433
	s_addc_u32 s5, 0, s5                                       // 00000000273C: 82050580
	s_sub_u32 s6, s6, s51                                      // 000000002740: 80863306
	v_mov_b32_e32 v58, 0                                       // 000000002744: 7E740280
	v_mov_b32_e32 v59, 0                                       // 000000002748: 7E760280
	v_mov_b32_e32 v60, 0                                       // 00000000274C: 7E780280
	v_mov_b32_e32 v61, 0                                       // 000000002750: 7E7A0280
	v_mov_b32_e32 v62, 0                                       // 000000002754: 7E7C0280
	v_mov_b32_e32 v63, 0                                       // 000000002758: 7E7E0280
	v_mov_b32_e32 v64, 0                                       // 00000000275C: 7E800280
	v_mov_b32_e32 v65, 0                                       // 000000002760: 7E820280
	buffer_load_dwordx4 a[0:3], v52, s[8:11], 0 offen          // 000000002764: E05C1000 80820034
	buffer_load_dwordx4 a[4:7], v53, s[8:11], 0 offen          // 00000000276C: E05C1000 80820435
	buffer_load_dwordx4 a[8:11], v54, s[8:11], 0 offen         // 000000002774: E05C1000 80820836
	buffer_load_dwordx4 a[12:15], v55, s[8:11], 0 offen        // 00000000277C: E05C1000 80820C37
	s_mov_b32 s50, 0                                           // 000000002784: BEB20080
	s_add_u32 s47, 0x80, s50                                   // 000000002788: 802F32FF 00000080
	s_cmp_lt_u32 s47, s34                                      // 000000002790: BF0A222F
	s_cselect_b32 s52, s52, 0                                  // 000000002794: 85348034
	s_add_u32 s8, s52, s8                                      // 000000002798: 80080834
	s_addc_u32 s9, 0, s9                                       // 00000000279C: 82090980
	s_sub_u32 s10, s10, s52                                    // 0000000027A0: 808A340A
	s_add_u32 m0, 0, s54                                       // 0000000027A4: 807C3680
	buffer_load_dword v34, s[4:7], 0 offen lds                 // 0000000027A8: E0511000 80010022
	s_add_u32 m0, 0x100, s54                                   // 0000000027B0: 807C36FF 00000100
	buffer_load_dword v35, s[4:7], 0 offen lds                 // 0000000027B8: E0511000 80010023
	s_add_u32 m0, 0x200, s54                                   // 0000000027C0: 807C36FF 00000200
	buffer_load_dword v36, s[4:7], 0 offen lds                 // 0000000027C8: E0511000 80010024
	s_add_u32 m0, 0x300, s54                                   // 0000000027D0: 807C36FF 00000300
	buffer_load_dword v37, s[4:7], 0 offen lds                 // 0000000027D8: E0511000 80010025
	s_add_u32 m0, 0x400, s54                                   // 0000000027E0: 807C36FF 00000400
	buffer_load_dword v38, s[4:7], 0 offen lds                 // 0000000027E8: E0511000 80010026
	s_add_u32 m0, 0x500, s54                                   // 0000000027F0: 807C36FF 00000500
	buffer_load_dword v39, s[4:7], 0 offen lds                 // 0000000027F8: E0511000 80010027
	s_add_u32 m0, 0x600, s54                                   // 000000002800: 807C36FF 00000600
	buffer_load_dword v40, s[4:7], 0 offen lds                 // 000000002808: E0511000 80010028
	s_add_u32 m0, 0x700, s54                                   // 000000002810: 807C36FF 00000700
	buffer_load_dword v41, s[4:7], 0 offen lds                 // 000000002818: E0511000 80010029
	s_add_u32 m0, 0x800, s54                                   // 000000002820: 807C36FF 00000800
	buffer_load_dword v42, s[4:7], 0 offen lds                 // 000000002828: E0511000 8001002A
	s_add_u32 m0, 0x900, s54                                   // 000000002830: 807C36FF 00000900
	buffer_load_dword v43, s[4:7], 0 offen lds                 // 000000002838: E0511000 8001002B
	s_add_u32 m0, 0xa00, s54                                   // 000000002840: 807C36FF 00000A00
	buffer_load_dword v44, s[4:7], 0 offen lds                 // 000000002848: E0511000 8001002C
	s_add_u32 m0, 0xb00, s54                                   // 000000002850: 807C36FF 00000B00
	buffer_load_dword v45, s[4:7], 0 offen lds                 // 000000002858: E0511000 8001002D
	s_add_u32 m0, 0xc00, s54                                   // 000000002860: 807C36FF 00000C00
	buffer_load_dword v46, s[4:7], 0 offen lds                 // 000000002868: E0511000 8001002E
	s_add_u32 m0, 0xd00, s54                                   // 000000002870: 807C36FF 00000D00
	buffer_load_dword v47, s[4:7], 0 offen lds                 // 000000002878: E0511000 8001002F
	s_add_u32 m0, 0xe00, s54                                   // 000000002880: 807C36FF 00000E00
	buffer_load_dword v48, s[4:7], 0 offen lds                 // 000000002888: E0511000 80010030
	s_add_u32 m0, 0xf00, s54                                   // 000000002890: 807C36FF 00000F00
	buffer_load_dword v49, s[4:7], 0 offen lds                 // 000000002898: E0511000 80010031
	s_mov_b32 s50, 0x80                                        // 0000000028A0: BEB200FF 00000080
	s_add_u32 s47, 0x80, s50                                   // 0000000028A8: 802F32FF 00000080
	s_cmp_lt_u32 s47, s34                                      // 0000000028B0: BF0A222F
	s_cselect_b32 s51, s51, 0                                  // 0000000028B4: 85338033
	s_add_u32 s4, s51, s4                                      // 0000000028B8: 80040433
	s_addc_u32 s5, 0, s5                                       // 0000000028BC: 82050580
	s_sub_u32 s6, s6, s51                                      // 0000000028C0: 80863306
	v_mov_b32_e32 v66, 0                                       // 0000000028C4: 7E840280
	v_mov_b32_e32 v67, 0                                       // 0000000028C8: 7E860280
	v_mov_b32_e32 v68, 0                                       // 0000000028CC: 7E880280
	v_mov_b32_e32 v69, 0                                       // 0000000028D0: 7E8A0280
	v_mov_b32_e32 v70, 0                                       // 0000000028D4: 7E8C0280
	v_mov_b32_e32 v71, 0                                       // 0000000028D8: 7E8E0280
	v_mov_b32_e32 v72, 0                                       // 0000000028DC: 7E900280
	v_mov_b32_e32 v73, 0                                       // 0000000028E0: 7E920280
	buffer_load_dwordx4 a[16:19], v52, s[8:11], 0 offen        // 0000000028E4: E05C1000 80821034
	buffer_load_dwordx4 a[20:23], v53, s[8:11], 0 offen        // 0000000028EC: E05C1000 80821435
	buffer_load_dwordx4 a[24:27], v54, s[8:11], 0 offen        // 0000000028F4: E05C1000 80821836
	buffer_load_dwordx4 a[28:31], v55, s[8:11], 0 offen        // 0000000028FC: E05C1000 80821C37
	s_mov_b32 s50, 0x80                                        // 000000002904: BEB200FF 00000080
	s_add_u32 s47, 0x80, s50                                   // 00000000290C: 802F32FF 00000080
	s_cmp_lt_u32 s47, s34                                      // 000000002914: BF0A222F
	s_cselect_b32 s52, s52, 0                                  // 000000002918: 85348034
	s_add_u32 s8, s52, s8                                      // 00000000291C: 80080834
	s_addc_u32 s9, 0, s9                                       // 000000002920: 82090980
	s_sub_u32 s10, s10, s52                                    // 000000002924: 808A340A
	s_add_u32 m0, 0, s55                                       // 000000002928: 807C3780
	buffer_load_dword v34, s[4:7], 0 offen lds                 // 00000000292C: E0511000 80010022
	s_add_u32 m0, 0x100, s55                                   // 000000002934: 807C37FF 00000100
	buffer_load_dword v35, s[4:7], 0 offen lds                 // 00000000293C: E0511000 80010023
	s_add_u32 m0, 0x200, s55                                   // 000000002944: 807C37FF 00000200
	buffer_load_dword v36, s[4:7], 0 offen lds                 // 00000000294C: E0511000 80010024
	s_add_u32 m0, 0x300, s55                                   // 000000002954: 807C37FF 00000300
	buffer_load_dword v37, s[4:7], 0 offen lds                 // 00000000295C: E0511000 80010025
	s_add_u32 m0, 0x400, s55                                   // 000000002964: 807C37FF 00000400
	buffer_load_dword v38, s[4:7], 0 offen lds                 // 00000000296C: E0511000 80010026
	s_add_u32 m0, 0x500, s55                                   // 000000002974: 807C37FF 00000500
	buffer_load_dword v39, s[4:7], 0 offen lds                 // 00000000297C: E0511000 80010027
	s_add_u32 m0, 0x600, s55                                   // 000000002984: 807C37FF 00000600
	buffer_load_dword v40, s[4:7], 0 offen lds                 // 00000000298C: E0511000 80010028
	s_add_u32 m0, 0x700, s55                                   // 000000002994: 807C37FF 00000700
	buffer_load_dword v41, s[4:7], 0 offen lds                 // 00000000299C: E0511000 80010029
	s_add_u32 m0, 0x800, s55                                   // 0000000029A4: 807C37FF 00000800
	buffer_load_dword v42, s[4:7], 0 offen lds                 // 0000000029AC: E0511000 8001002A
	s_add_u32 m0, 0x900, s55                                   // 0000000029B4: 807C37FF 00000900
	buffer_load_dword v43, s[4:7], 0 offen lds                 // 0000000029BC: E0511000 8001002B
	s_add_u32 m0, 0xa00, s55                                   // 0000000029C4: 807C37FF 00000A00
	buffer_load_dword v44, s[4:7], 0 offen lds                 // 0000000029CC: E0511000 8001002C
	s_add_u32 m0, 0xb00, s55                                   // 0000000029D4: 807C37FF 00000B00
	buffer_load_dword v45, s[4:7], 0 offen lds                 // 0000000029DC: E0511000 8001002D
	s_add_u32 m0, 0xc00, s55                                   // 0000000029E4: 807C37FF 00000C00
	buffer_load_dword v46, s[4:7], 0 offen lds                 // 0000000029EC: E0511000 8001002E
	s_add_u32 m0, 0xd00, s55                                   // 0000000029F4: 807C37FF 00000D00
	buffer_load_dword v47, s[4:7], 0 offen lds                 // 0000000029FC: E0511000 8001002F
	s_add_u32 m0, 0xe00, s55                                   // 000000002A04: 807C37FF 00000E00
	buffer_load_dword v48, s[4:7], 0 offen lds                 // 000000002A0C: E0511000 80010030
	s_add_u32 m0, 0xf00, s55                                   // 000000002A14: 807C37FF 00000F00
	buffer_load_dword v49, s[4:7], 0 offen lds                 // 000000002A1C: E0511000 80010031
	s_mov_b32 s50, 0x100                                       // 000000002A24: BEB200FF 00000100
	s_add_u32 s47, 0x80, s50                                   // 000000002A2C: 802F32FF 00000080
	s_cmp_lt_u32 s47, s34                                      // 000000002A34: BF0A222F
	s_cselect_b32 s51, s51, 0                                  // 000000002A38: 85338033
	s_add_u32 s4, s51, s4                                      // 000000002A3C: 80040433
	s_addc_u32 s5, 0, s5                                       // 000000002A40: 82050580
	s_sub_u32 s6, s6, s51                                      // 000000002A44: 80863306
	v_mov_b32_e32 v74, 0                                       // 000000002A48: 7E940280
	v_mov_b32_e32 v75, 0                                       // 000000002A4C: 7E960280
	v_mov_b32_e32 v76, 0                                       // 000000002A50: 7E980280
	v_mov_b32_e32 v77, 0                                       // 000000002A54: 7E9A0280
	v_mov_b32_e32 v78, 0                                       // 000000002A58: 7E9C0280
	v_mov_b32_e32 v79, 0                                       // 000000002A5C: 7E9E0280
	v_mov_b32_e32 v80, 0                                       // 000000002A60: 7EA00280
	v_mov_b32_e32 v81, 0                                       // 000000002A64: 7EA20280
	v_mov_b32_e32 v82, 0                                       // 000000002A68: 7EA40280
	v_mov_b32_e32 v83, 0                                       // 000000002A6C: 7EA60280
	v_mov_b32_e32 v84, 0                                       // 000000002A70: 7EA80280
	v_mov_b32_e32 v85, 0                                       // 000000002A74: 7EAA0280
	v_mov_b32_e32 v86, 0                                       // 000000002A78: 7EAC0280
	v_mov_b32_e32 v87, 0                                       // 000000002A7C: 7EAE0280
	v_mov_b32_e32 v88, 0                                       // 000000002A80: 7EB00280
	v_mov_b32_e32 v89, 0                                       // 000000002A84: 7EB20280
	v_mov_b32_e32 v90, 0                                       // 000000002A88: 7EB40280
	v_mov_b32_e32 v91, 0                                       // 000000002A8C: 7EB60280
	v_mov_b32_e32 v92, 0                                       // 000000002A90: 7EB80280
	v_mov_b32_e32 v93, 0                                       // 000000002A94: 7EBA0280
	v_mov_b32_e32 v94, 0                                       // 000000002A98: 7EBC0280
	v_mov_b32_e32 v95, 0                                       // 000000002A9C: 7EBE0280
	v_mov_b32_e32 v96, 0                                       // 000000002AA0: 7EC00280
	v_mov_b32_e32 v97, 0                                       // 000000002AA4: 7EC20280
	v_mov_b32_e32 v98, 0                                       // 000000002AA8: 7EC40280
	v_mov_b32_e32 v99, 0                                       // 000000002AAC: 7EC60280
	v_mov_b32_e32 v100, 0                                      // 000000002AB0: 7EC80280
	v_mov_b32_e32 v101, 0                                      // 000000002AB4: 7ECA0280
	v_mov_b32_e32 v102, 0                                      // 000000002AB8: 7ECC0280
	v_mov_b32_e32 v103, 0                                      // 000000002ABC: 7ECE0280
	v_mov_b32_e32 v104, 0                                      // 000000002AC0: 7ED00280
	v_mov_b32_e32 v105, 0                                      // 000000002AC4: 7ED20280
	v_mov_b32_e32 v106, 0                                      // 000000002AC8: 7ED40280
	v_mov_b32_e32 v107, 0                                      // 000000002ACC: 7ED60280
	v_mov_b32_e32 v108, 0                                      // 000000002AD0: 7ED80280
	v_mov_b32_e32 v109, 0                                      // 000000002AD4: 7EDA0280
	v_mov_b32_e32 v110, 0                                      // 000000002AD8: 7EDC0280
	v_mov_b32_e32 v111, 0                                      // 000000002ADC: 7EDE0280
	v_mov_b32_e32 v112, 0                                      // 000000002AE0: 7EE00280
	v_mov_b32_e32 v113, 0                                      // 000000002AE4: 7EE20280
	v_mov_b32_e32 v114, 0                                      // 000000002AE8: 7EE40280
	v_mov_b32_e32 v115, 0                                      // 000000002AEC: 7EE60280
	v_mov_b32_e32 v116, 0                                      // 000000002AF0: 7EE80280
	v_mov_b32_e32 v117, 0                                      // 000000002AF4: 7EEA0280
	v_mov_b32_e32 v118, 0                                      // 000000002AF8: 7EEC0280
	v_mov_b32_e32 v119, 0                                      // 000000002AFC: 7EEE0280
	v_mov_b32_e32 v120, 0                                      // 000000002B00: 7EF00280
	v_mov_b32_e32 v121, 0                                      // 000000002B04: 7EF20280
	s_mov_b32 s40, s34                                         // 000000002B08: BEA80022
	s_mov_b32 s39, 0                                           // 000000002B0C: BEA70080
	s_waitcnt vmcnt(40)                                        // 000000002B10: BF8C8F78
	s_barrier                                                  // 000000002B14: BF8A0000
	ds_read_b128 a[48:51], v50                                 // 000000002B18: DBFE0000 30000032
	ds_read_b128 a[52:55], v50 offset:64                       // 000000002B20: DBFE0040 34000032
	ds_read_b128 a[56:59], v50 offset:512                      // 000000002B28: DBFE0200 38000032
	ds_read_b128 a[60:63], v50 offset:576                      // 000000002B30: DBFE0240 3C000032
	ds_read_b128 a[64:67], v50 offset:1024                     // 000000002B38: DBFE0400 40000032
	ds_read_b128 a[68:71], v50 offset:1088                     // 000000002B40: DBFE0440 44000032
	ds_read_b128 a[72:75], v50 offset:1536                     // 000000002B48: DBFE0600 48000032
	ds_read_b128 a[76:79], v50 offset:1600                     // 000000002B50: DBFE0640 4C000032
	ds_read_b128 a[80:83], v50 offset:2048                     // 000000002B58: DBFE0800 50000032
	ds_read_b128 a[84:87], v50 offset:2112                     // 000000002B60: DBFE0840 54000032
	ds_read_b128 a[88:91], v50 offset:2560                     // 000000002B68: DBFE0A00 58000032
	ds_read_b128 a[92:95], v50 offset:2624                     // 000000002B70: DBFE0A40 5C000032
	ds_read_b128 a[96:99], v50 offset:3072                     // 000000002B78: DBFE0C00 60000032
	ds_read_b128 a[100:103], v50 offset:3136                   // 000000002B80: DBFE0C40 64000032
	ds_read_b128 a[104:107], v50 offset:3584                   // 000000002B88: DBFE0E00 68000032
	ds_read_b128 a[108:111], v50 offset:3648                   // 000000002B90: DBFE0E40 6C000032
	s_mov_b32 s47, 0                                           // 000000002B98: BEAF0080
	s_mov_b32 s48, 1.0                                         // 000000002B9C: BEB000F2
	s_cmp_eq_u32 s47, s75                                      // 000000002BA0: BF064B2F
	s_cselect_b32 s47, s48, 0                                  // 000000002BA4: 852F8030
	v_mul_f32_e64 v184, v184, s47                              // 000000002BA8: D10500B8 00005FB8
	v_mul_f32_e64 v185, v185, s47                              // 000000002BB0: D10500B9 00005FB9
	v_mul_f32_e64 v186, v186, s47                              // 000000002BB8: D10500BA 00005FBA
	v_mul_f32_e64 v187, v187, s47                              // 000000002BC0: D10500BB 00005FBB
	v_mul_f32_e64 v188, v188, s47                              // 000000002BC8: D10500BC 00005FBC
	v_mul_f32_e64 v189, v189, s47                              // 000000002BD0: D10500BD 00005FBD
	v_mul_f32_e64 v190, v190, s47                              // 000000002BD8: D10500BE 00005FBE
	v_mul_f32_e64 v191, v191, s47                              // 000000002BE0: D10500BF 00005FBF
	v_and_b32_e64 v16, v0, 15                                  // 000000002BE8: D1130010 00011F00
	v_mul_lo_u32 v16, v16, s37                                 // 000000002BF0: D2850010 00004B10
	v_lshrrev_b32_e32 v4, 4, v0                                // 000000002BF8: 20080084
	v_mul_i32_i24_e32 v4, 8, v4                                // 000000002BFC: 0C080888
	v_add_u32_e32 v16, v4, v16                                 // 000000002C00: 68202104
	s_mul_i32 s47, 32, s44                                     // 000000002C04: 922F2CA0
	s_mul_i32 s47, 2, s47                                      // 000000002C08: 922F2F82
	v_add_u32_e32 v16, s47, v16                                // 000000002C0C: 6820202F
	s_mul_i32 s47, 16, s37                                     // 000000002C10: 922F2590
	v_add_u32_e32 v17, s47, v16                                // 000000002C14: 6822202F
	v_add_u32_e32 v18, s47, v17                                // 000000002C18: 6824222F
	v_add_u32_e32 v19, s47, v18                                // 000000002C1C: 6826242F
	v_add_u32_e32 v20, s47, v19                                // 000000002C20: 6828262F
	v_add_u32_e32 v21, s47, v20                                // 000000002C24: 682A282F
	v_add_u32_e32 v22, s47, v21                                // 000000002C28: 682C2A2F
	v_add_u32_e32 v23, s47, v22                                // 000000002C2C: 682E2C2F
	s_mul_i32 s47, s44, s37                                    // 000000002C30: 922F252C
	v_lshlrev_b32_e32 v5, 2, v0                                // 000000002C34: 240A0082
	v_add_u32_e32 v24, s47, v5                                 // 000000002C38: 68300A2F
	s_mul_i32 s47, s42, 0x80                                   // 000000002C3C: 922FFF2A 00000080
	s_add_i32 s77, s47, s44                                    // 000000002C44: 814D2C2F
	s_cmp_lt_i32 s39, s40                                      // 000000002C48: BF042827
	s_cbranch_scc0 label_08F1                                  // 000000002C4C: BF8405DD

0000000000002c50 <label_0314>:
	s_waitcnt vmcnt(20) lgkmcnt(0)                             // 000000002C50: BF8C4074
	s_barrier                                                  // 000000002C54: BF8A0000
	v_mfma_i32_16x16x32_i8 v[58:61], a[0:1], a[48:49], v[58:61]// 000000002C58: D3D7003A 1CEA6100
	s_add_u32 m0, 0, s53                                       // 000000002C60: 807C3580
	buffer_load_dword v34, s[4:7], 0 offen lds                 // 000000002C64: E0511000 80010022
	v_mfma_i32_16x16x32_i8 v[58:61], a[2:3], a[50:51], v[58:61]// 000000002C6C: D3D7003A 1CEA6502
	ds_read_b128 a[112:115], v50 offset:16512                  // 000000002C74: DBFE4080 70000032
	v_mfma_i32_16x16x32_i8 v[58:61], a[4:5], a[52:53], v[58:61]// 000000002C7C: D3D7003A 1CEA6904
	s_add_u32 m0, 0x100, s53                                   // 000000002C84: 807C35FF 00000100
	buffer_load_dword v35, s[4:7], 0 offen lds                 // 000000002C8C: E0511000 80010023
	v_mfma_i32_16x16x32_i8 v[58:61], a[6:7], a[54:55], v[58:61]// 000000002C94: D3D7003A 1CEA6D06
	ds_read_b128 a[116:119], v50 offset:16576                  // 000000002C9C: DBFE40C0 74000032
	v_mfma_i32_16x16x32_i8 v[62:65], a[8:9], a[48:49], v[62:65]// 000000002CA4: D3D7003E 1CFA6108
	buffer_load_dwordx4 a[32:35], v52, s[8:11], 0 offen        // 000000002CAC: E05C1000 80822034
	v_mfma_i32_16x16x32_i8 v[62:65], a[10:11], a[50:51], v[62:65]// 000000002CB4: D3D7003E 1CFA650A
	v_mfma_i32_16x16x32_i8 v[62:65], a[12:13], a[52:53], v[62:65]// 000000002CBC: D3D7003E 1CFA690C
	buffer_load_dwordx4 a[36:39], v53, s[8:11], 0 offen        // 000000002CC4: E05C1000 80822435
	v_mfma_i32_16x16x32_i8 v[62:65], a[14:15], a[54:55], v[62:65]// 000000002CCC: D3D7003E 1CFA6D0E
	v_mfma_i32_16x16x32_i8 v[66:69], a[0:1], a[56:57], v[66:69]// 000000002CD4: D3D70042 1D0A7100
	s_add_u32 m0, 0x200, s53                                   // 000000002CDC: 807C35FF 00000200
	buffer_load_dword v36, s[4:7], 0 offen lds                 // 000000002CE4: E0511000 80010024
	v_mfma_i32_16x16x32_i8 v[66:69], a[2:3], a[58:59], v[66:69]// 000000002CEC: D3D70042 1D0A7502
	ds_read_b128 a[120:123], v50 offset:17024                  // 000000002CF4: DBFE4280 78000032
	v_mfma_i32_16x16x32_i8 v[66:69], a[4:5], a[60:61], v[66:69]// 000000002CFC: D3D70042 1D0A7904
	s_add_u32 m0, 0x300, s53                                   // 000000002D04: 807C35FF 00000300
	buffer_load_dword v37, s[4:7], 0 offen lds                 // 000000002D0C: E0511000 80010025
	v_mfma_i32_16x16x32_i8 v[66:69], a[6:7], a[62:63], v[66:69]// 000000002D14: D3D70042 1D0A7D06
	ds_read_b128 a[124:127], v50 offset:17088                  // 000000002D1C: DBFE42C0 7C000032
	v_mfma_i32_16x16x32_i8 v[70:73], a[8:9], a[56:57], v[70:73]// 000000002D24: D3D70046 1D1A7108
	buffer_load_dwordx4 a[40:43], v54, s[8:11], 0 offen        // 000000002D2C: E05C1000 80822836
	v_mfma_i32_16x16x32_i8 v[70:73], a[10:11], a[58:59], v[70:73]// 000000002D34: D3D70046 1D1A750A
	v_mfma_i32_16x16x32_i8 v[70:73], a[12:13], a[60:61], v[70:73]// 000000002D3C: D3D70046 1D1A790C
	buffer_load_dwordx4 a[44:47], v55, s[8:11], 0 offen        // 000000002D44: E05C1000 80822C37
	v_mfma_i32_16x16x32_i8 v[70:73], a[14:15], a[62:63], v[70:73]// 000000002D4C: D3D70046 1D1A7D0E
	v_mfma_i32_16x16x32_i8 v[74:77], a[0:1], a[64:65], v[74:77]// 000000002D54: D3D7004A 1D2A8100
	s_add_u32 m0, 0x400, s53                                   // 000000002D5C: 807C35FF 00000400
	buffer_load_dword v38, s[4:7], 0 offen lds                 // 000000002D64: E0511000 80010026
	v_mfma_i32_16x16x32_i8 v[74:77], a[2:3], a[66:67], v[74:77]// 000000002D6C: D3D7004A 1D2A8502
	ds_read_b128 a[128:131], v50 offset:17536                  // 000000002D74: DBFE4480 80000032
	v_mfma_i32_16x16x32_i8 v[74:77], a[4:5], a[68:69], v[74:77]// 000000002D7C: D3D7004A 1D2A8904
	s_add_u32 m0, 0x500, s53                                   // 000000002D84: 807C35FF 00000500
	buffer_load_dword v39, s[4:7], 0 offen lds                 // 000000002D8C: E0511000 80010027
	v_mfma_i32_16x16x32_i8 v[74:77], a[6:7], a[70:71], v[74:77]// 000000002D94: D3D7004A 1D2A8D06
	ds_read_b128 a[132:135], v50 offset:17600                  // 000000002D9C: DBFE44C0 84000032
	v_mfma_i32_16x16x32_i8 v[78:81], a[8:9], a[64:65], v[78:81]// 000000002DA4: D3D7004E 1D3A8108
	v_mfma_i32_16x16x32_i8 v[78:81], a[10:11], a[66:67], v[78:81]// 000000002DAC: D3D7004E 1D3A850A
	v_mfma_i32_16x16x32_i8 v[78:81], a[12:13], a[68:69], v[78:81]// 000000002DB4: D3D7004E 1D3A890C
	v_mfma_i32_16x16x32_i8 v[78:81], a[14:15], a[70:71], v[78:81]// 000000002DBC: D3D7004E 1D3A8D0E
	v_mfma_i32_16x16x32_i8 v[82:85], a[0:1], a[72:73], v[82:85]// 000000002DC4: D3D70052 1D4A9100
	s_add_u32 m0, 0x600, s53                                   // 000000002DCC: 807C35FF 00000600
	buffer_load_dword v40, s[4:7], 0 offen lds                 // 000000002DD4: E0511000 80010028
	v_mfma_i32_16x16x32_i8 v[82:85], a[2:3], a[74:75], v[82:85]// 000000002DDC: D3D70052 1D4A9502
	ds_read_b128 a[136:139], v50 offset:18048                  // 000000002DE4: DBFE4680 88000032
	v_mfma_i32_16x16x32_i8 v[82:85], a[4:5], a[76:77], v[82:85]// 000000002DEC: D3D70052 1D4A9904
	s_add_u32 m0, 0x700, s53                                   // 000000002DF4: 807C35FF 00000700
	buffer_load_dword v41, s[4:7], 0 offen lds                 // 000000002DFC: E0511000 80010029
	v_mfma_i32_16x16x32_i8 v[82:85], a[6:7], a[78:79], v[82:85]// 000000002E04: D3D70052 1D4A9D06
	ds_read_b128 a[140:143], v50 offset:18112                  // 000000002E0C: DBFE46C0 8C000032
	v_mfma_i32_16x16x32_i8 v[86:89], a[8:9], a[72:73], v[86:89]// 000000002E14: D3D70056 1D5A9108
	v_mfma_i32_16x16x32_i8 v[86:89], a[10:11], a[74:75], v[86:89]// 000000002E1C: D3D70056 1D5A950A
	v_mfma_i32_16x16x32_i8 v[86:89], a[12:13], a[76:77], v[86:89]// 000000002E24: D3D70056 1D5A990C
	v_mfma_i32_16x16x32_i8 v[86:89], a[14:15], a[78:79], v[86:89]// 000000002E2C: D3D70056 1D5A9D0E
	v_mfma_i32_16x16x32_i8 v[90:93], a[0:1], a[80:81], v[90:93]// 000000002E34: D3D7005A 1D6AA100
	s_add_u32 m0, 0x800, s53                                   // 000000002E3C: 807C35FF 00000800
	buffer_load_dword v42, s[4:7], 0 offen lds                 // 000000002E44: E0511000 8001002A
	v_mfma_i32_16x16x32_i8 v[90:93], a[2:3], a[82:83], v[90:93]// 000000002E4C: D3D7005A 1D6AA502
	ds_read_b128 a[144:147], v50 offset:18560                  // 000000002E54: DBFE4880 90000032
	v_mfma_i32_16x16x32_i8 v[90:93], a[4:5], a[84:85], v[90:93]// 000000002E5C: D3D7005A 1D6AA904
	s_add_u32 m0, 0x900, s53                                   // 000000002E64: 807C35FF 00000900
	buffer_load_dword v43, s[4:7], 0 offen lds                 // 000000002E6C: E0511000 8001002B
	v_mfma_i32_16x16x32_i8 v[90:93], a[6:7], a[86:87], v[90:93]// 000000002E74: D3D7005A 1D6AAD06
	ds_read_b128 a[148:151], v50 offset:18624                  // 000000002E7C: DBFE48C0 94000032
	v_mfma_i32_16x16x32_i8 v[94:97], a[8:9], a[80:81], v[94:97]// 000000002E84: D3D7005E 1D7AA108
	v_mfma_i32_16x16x32_i8 v[94:97], a[10:11], a[82:83], v[94:97]// 000000002E8C: D3D7005E 1D7AA50A
	v_mfma_i32_16x16x32_i8 v[94:97], a[12:13], a[84:85], v[94:97]// 000000002E94: D3D7005E 1D7AA90C
	v_mfma_i32_16x16x32_i8 v[94:97], a[14:15], a[86:87], v[94:97]// 000000002E9C: D3D7005E 1D7AAD0E
	v_mfma_i32_16x16x32_i8 v[98:101], a[0:1], a[88:89], v[98:101]// 000000002EA4: D3D70062 1D8AB100
	s_add_u32 m0, 0xa00, s53                                   // 000000002EAC: 807C35FF 00000A00
	buffer_load_dword v44, s[4:7], 0 offen lds                 // 000000002EB4: E0511000 8001002C
	v_mfma_i32_16x16x32_i8 v[98:101], a[2:3], a[90:91], v[98:101]// 000000002EBC: D3D70062 1D8AB502
	ds_read_b128 a[152:155], v50 offset:19072                  // 000000002EC4: DBFE4A80 98000032
	v_mfma_i32_16x16x32_i8 v[98:101], a[4:5], a[92:93], v[98:101]// 000000002ECC: D3D70062 1D8AB904
	s_add_u32 m0, 0xb00, s53                                   // 000000002ED4: 807C35FF 00000B00
	buffer_load_dword v45, s[4:7], 0 offen lds                 // 000000002EDC: E0511000 8001002D
	v_mfma_i32_16x16x32_i8 v[98:101], a[6:7], a[94:95], v[98:101]// 000000002EE4: D3D70062 1D8ABD06
	ds_read_b128 a[156:159], v50 offset:19136                  // 000000002EEC: DBFE4AC0 9C000032
	v_mfma_i32_16x16x32_i8 v[102:105], a[8:9], a[88:89], v[102:105]// 000000002EF4: D3D70066 1D9AB108
	v_mfma_i32_16x16x32_i8 v[102:105], a[10:11], a[90:91], v[102:105]// 000000002EFC: D3D70066 1D9AB50A
	v_mfma_i32_16x16x32_i8 v[102:105], a[12:13], a[92:93], v[102:105]// 000000002F04: D3D70066 1D9AB90C
	v_mfma_i32_16x16x32_i8 v[102:105], a[14:15], a[94:95], v[102:105]// 000000002F0C: D3D70066 1D9ABD0E
	v_mfma_i32_16x16x32_i8 v[106:109], a[0:1], a[96:97], v[106:109]// 000000002F14: D3D7006A 1DAAC100
	s_add_u32 m0, 0xc00, s53                                   // 000000002F1C: 807C35FF 00000C00
	buffer_load_dword v46, s[4:7], 0 offen lds                 // 000000002F24: E0511000 8001002E
	v_mfma_i32_16x16x32_i8 v[106:109], a[2:3], a[98:99], v[106:109]// 000000002F2C: D3D7006A 1DAAC502
	ds_read_b128 a[160:163], v50 offset:19584                  // 000000002F34: DBFE4C80 A0000032
	v_mfma_i32_16x16x32_i8 v[106:109], a[4:5], a[100:101], v[106:109]// 000000002F3C: D3D7006A 1DAAC904
	s_add_u32 m0, 0xd00, s53                                   // 000000002F44: 807C35FF 00000D00
	buffer_load_dword v47, s[4:7], 0 offen lds                 // 000000002F4C: E0511000 8001002F
	v_mfma_i32_16x16x32_i8 v[106:109], a[6:7], a[102:103], v[106:109]// 000000002F54: D3D7006A 1DAACD06
	ds_read_b128 a[164:167], v50 offset:19648                  // 000000002F5C: DBFE4CC0 A4000032
	v_mfma_i32_16x16x32_i8 v[110:113], a[8:9], a[96:97], v[110:113]// 000000002F64: D3D7006E 1DBAC108
	v_mfma_i32_16x16x32_i8 v[110:113], a[10:11], a[98:99], v[110:113]// 000000002F6C: D3D7006E 1DBAC50A
	v_mfma_i32_16x16x32_i8 v[110:113], a[12:13], a[100:101], v[110:113]// 000000002F74: D3D7006E 1DBAC90C
	v_mfma_i32_16x16x32_i8 v[110:113], a[14:15], a[102:103], v[110:113]// 000000002F7C: D3D7006E 1DBACD0E
	v_mfma_i32_16x16x32_i8 v[114:117], a[0:1], a[104:105], v[114:117]// 000000002F84: D3D70072 1DCAD100
	s_add_u32 m0, 0xe00, s53                                   // 000000002F8C: 807C35FF 00000E00
	buffer_load_dword v48, s[4:7], 0 offen lds                 // 000000002F94: E0511000 80010030
	v_mfma_i32_16x16x32_i8 v[114:117], a[2:3], a[106:107], v[114:117]// 000000002F9C: D3D70072 1DCAD502
	ds_read_b128 a[168:171], v50 offset:20096                  // 000000002FA4: DBFE4E80 A8000032
	v_mfma_i32_16x16x32_i8 v[114:117], a[4:5], a[108:109], v[114:117]// 000000002FAC: D3D70072 1DCAD904
	s_add_u32 m0, 0xf00, s53                                   // 000000002FB4: 807C35FF 00000F00
	buffer_load_dword v49, s[4:7], 0 offen lds                 // 000000002FBC: E0511000 80010031
	v_mfma_i32_16x16x32_i8 v[114:117], a[6:7], a[110:111], v[114:117]// 000000002FC4: D3D70072 1DCADD06
	ds_read_b128 a[172:175], v50 offset:20160                  // 000000002FCC: DBFE4EC0 AC000032
	v_mfma_i32_16x16x32_i8 v[118:121], a[8:9], a[104:105], v[118:121]// 000000002FD4: D3D70076 1DDAD108
	v_mfma_i32_16x16x32_i8 v[118:121], a[10:11], a[106:107], v[118:121]// 000000002FDC: D3D70076 1DDAD50A
	s_add_u32 s47, 0x200, s39                                  // 000000002FE4: 802F27FF 00000200
	s_cmp_lt_u32 s47, s40                                      // 000000002FEC: BF0A282F
	s_cselect_b32 s51, s51, 0                                  // 000000002FF0: 85338033
	s_add_u32 s47, 0x180, s39                                  // 000000002FF4: 802F27FF 00000180
	s_cmp_lt_u32 s47, s40                                      // 000000002FFC: BF0A282F
	s_cselect_b32 s52, s52, 0                                  // 000000003000: 85348034
	v_mfma_i32_16x16x32_i8 v[118:121], a[12:13], a[108:109], v[118:121]// 000000003004: D3D70076 1DDAD90C
	v_mfma_i32_16x16x32_i8 v[118:121], a[14:15], a[110:111], v[118:121]// 00000000300C: D3D70076 1DDADD0E
	s_add_u32 s4, s51, s4                                      // 000000003014: 80040433
	s_addc_u32 s5, 0, s5                                       // 000000003018: 82050580
	s_sub_u32 s6, s6, s51                                      // 00000000301C: 80863306
	s_add_u32 s8, s52, s8                                      // 000000003020: 80080834
	s_addc_u32 s9, 0, s9                                       // 000000003024: 82090980
	s_sub_u32 s10, s10, s52                                    // 000000003028: 808A340A
	s_addk_i32 s39, 0x80                                       // 00000000302C: B7270080
	s_cmp_lt_i32 s39, s40                                      // 000000003030: BF042827
	s_cbranch_scc0 label_08F1                                  // 000000003034: BF8404E3
	s_waitcnt vmcnt(20) lgkmcnt(0)                             // 000000003038: BF8C4074
	s_barrier                                                  // 00000000303C: BF8A0000
	v_mfma_i32_16x16x32_i8 v[58:61], a[16:17], a[112:113], v[58:61]// 000000003040: D3D7003A 1CEAE110
	s_add_u32 m0, 0, s54                                       // 000000003048: 807C3680
	buffer_load_dword v34, s[4:7], 0 offen lds                 // 00000000304C: E0511000 80010022
	v_mfma_i32_16x16x32_i8 v[58:61], a[18:19], a[114:115], v[58:61]// 000000003054: D3D7003A 1CEAE512
	ds_read_b128 a[48:51], v50 offset:33024                    // 00000000305C: DBFE8100 30000032
	v_mfma_i32_16x16x32_i8 v[58:61], a[20:21], a[116:117], v[58:61]// 000000003064: D3D7003A 1CEAE914
	s_add_u32 m0, 0x100, s54                                   // 00000000306C: 807C36FF 00000100
	buffer_load_dword v35, s[4:7], 0 offen lds                 // 000000003074: E0511000 80010023
	v_mfma_i32_16x16x32_i8 v[58:61], a[22:23], a[118:119], v[58:61]// 00000000307C: D3D7003A 1CEAED16
	ds_read_b128 a[52:55], v50 offset:33088                    // 000000003084: DBFE8140 34000032
	v_mfma_i32_16x16x32_i8 v[62:65], a[24:25], a[112:113], v[62:65]// 00000000308C: D3D7003E 1CFAE118
	buffer_load_dwordx4 a[0:3], v52, s[8:11], 0 offen          // 000000003094: E05C1000 80820034
	v_mfma_i32_16x16x32_i8 v[62:65], a[26:27], a[114:115], v[62:65]// 00000000309C: D3D7003E 1CFAE51A
	v_mfma_i32_16x16x32_i8 v[62:65], a[28:29], a[116:117], v[62:65]// 0000000030A4: D3D7003E 1CFAE91C
	buffer_load_dwordx4 a[4:7], v53, s[8:11], 0 offen          // 0000000030AC: E05C1000 80820435
	v_mfma_i32_16x16x32_i8 v[62:65], a[30:31], a[118:119], v[62:65]// 0000000030B4: D3D7003E 1CFAED1E
	v_mfma_i32_16x16x32_i8 v[66:69], a[16:17], a[120:121], v[66:69]// 0000000030BC: D3D70042 1D0AF110
	s_add_u32 m0, 0x200, s54                                   // 0000000030C4: 807C36FF 00000200
	buffer_load_dword v36, s[4:7], 0 offen lds                 // 0000000030CC: E0511000 80010024
	v_mfma_i32_16x16x32_i8 v[66:69], a[18:19], a[122:123], v[66:69]// 0000000030D4: D3D70042 1D0AF512
	ds_read_b128 a[56:59], v50 offset:33536                    // 0000000030DC: DBFE8300 38000032
	v_mfma_i32_16x16x32_i8 v[66:69], a[20:21], a[124:125], v[66:69]// 0000000030E4: D3D70042 1D0AF914
	s_add_u32 m0, 0x300, s54                                   // 0000000030EC: 807C36FF 00000300
	buffer_load_dword v37, s[4:7], 0 offen lds                 // 0000000030F4: E0511000 80010025
	v_mfma_i32_16x16x32_i8 v[66:69], a[22:23], a[126:127], v[66:69]// 0000000030FC: D3D70042 1D0AFD16
	ds_read_b128 a[60:63], v50 offset:33600                    // 000000003104: DBFE8340 3C000032
	v_mfma_i32_16x16x32_i8 v[70:73], a[24:25], a[120:121], v[70:73]// 00000000310C: D3D70046 1D1AF118
	buffer_load_dwordx4 a[8:11], v54, s[8:11], 0 offen         // 000000003114: E05C1000 80820836
	v_mfma_i32_16x16x32_i8 v[70:73], a[26:27], a[122:123], v[70:73]// 00000000311C: D3D70046 1D1AF51A
	v_mfma_i32_16x16x32_i8 v[70:73], a[28:29], a[124:125], v[70:73]// 000000003124: D3D70046 1D1AF91C
	buffer_load_dwordx4 a[12:15], v55, s[8:11], 0 offen        // 00000000312C: E05C1000 80820C37
	v_mfma_i32_16x16x32_i8 v[70:73], a[30:31], a[126:127], v[70:73]// 000000003134: D3D70046 1D1AFD1E
	v_mfma_i32_16x16x32_i8 v[74:77], a[16:17], a[128:129], v[74:77]// 00000000313C: D3D7004A 1D2B0110
	s_add_u32 m0, 0x400, s54                                   // 000000003144: 807C36FF 00000400
	buffer_load_dword v38, s[4:7], 0 offen lds                 // 00000000314C: E0511000 80010026
	v_mfma_i32_16x16x32_i8 v[74:77], a[18:19], a[130:131], v[74:77]// 000000003154: D3D7004A 1D2B0512
	ds_read_b128 a[64:67], v50 offset:34048                    // 00000000315C: DBFE8500 40000032
	v_mfma_i32_16x16x32_i8 v[74:77], a[20:21], a[132:133], v[74:77]// 000000003164: D3D7004A 1D2B0914
	s_add_u32 m0, 0x500, s54                                   // 00000000316C: 807C36FF 00000500
	buffer_load_dword v39, s[4:7], 0 offen lds                 // 000000003174: E0511000 80010027
	v_mfma_i32_16x16x32_i8 v[74:77], a[22:23], a[134:135], v[74:77]// 00000000317C: D3D7004A 1D2B0D16
	ds_read_b128 a[68:71], v50 offset:34112                    // 000000003184: DBFE8540 44000032
	v_mfma_i32_16x16x32_i8 v[78:81], a[24:25], a[128:129], v[78:81]// 00000000318C: D3D7004E 1D3B0118
	v_mfma_i32_16x16x32_i8 v[78:81], a[26:27], a[130:131], v[78:81]// 000000003194: D3D7004E 1D3B051A
	v_mfma_i32_16x16x32_i8 v[78:81], a[28:29], a[132:133], v[78:81]// 00000000319C: D3D7004E 1D3B091C
	v_mfma_i32_16x16x32_i8 v[78:81], a[30:31], a[134:135], v[78:81]// 0000000031A4: D3D7004E 1D3B0D1E
	v_mfma_i32_16x16x32_i8 v[82:85], a[16:17], a[136:137], v[82:85]// 0000000031AC: D3D70052 1D4B1110
	s_add_u32 m0, 0x600, s54                                   // 0000000031B4: 807C36FF 00000600
	buffer_load_dword v40, s[4:7], 0 offen lds                 // 0000000031BC: E0511000 80010028
	v_mfma_i32_16x16x32_i8 v[82:85], a[18:19], a[138:139], v[82:85]// 0000000031C4: D3D70052 1D4B1512
	ds_read_b128 a[72:75], v50 offset:34560                    // 0000000031CC: DBFE8700 48000032
	v_mfma_i32_16x16x32_i8 v[82:85], a[20:21], a[140:141], v[82:85]// 0000000031D4: D3D70052 1D4B1914
	s_add_u32 m0, 0x700, s54                                   // 0000000031DC: 807C36FF 00000700
	buffer_load_dword v41, s[4:7], 0 offen lds                 // 0000000031E4: E0511000 80010029
	v_mfma_i32_16x16x32_i8 v[82:85], a[22:23], a[142:143], v[82:85]// 0000000031EC: D3D70052 1D4B1D16
	ds_read_b128 a[76:79], v50 offset:34624                    // 0000000031F4: DBFE8740 4C000032
	v_mfma_i32_16x16x32_i8 v[86:89], a[24:25], a[136:137], v[86:89]// 0000000031FC: D3D70056 1D5B1118
	v_mfma_i32_16x16x32_i8 v[86:89], a[26:27], a[138:139], v[86:89]// 000000003204: D3D70056 1D5B151A
	v_mfma_i32_16x16x32_i8 v[86:89], a[28:29], a[140:141], v[86:89]// 00000000320C: D3D70056 1D5B191C
	v_mfma_i32_16x16x32_i8 v[86:89], a[30:31], a[142:143], v[86:89]// 000000003214: D3D70056 1D5B1D1E
	v_mfma_i32_16x16x32_i8 v[90:93], a[16:17], a[144:145], v[90:93]// 00000000321C: D3D7005A 1D6B2110
	s_add_u32 m0, 0x800, s54                                   // 000000003224: 807C36FF 00000800
	buffer_load_dword v42, s[4:7], 0 offen lds                 // 00000000322C: E0511000 8001002A
	v_mfma_i32_16x16x32_i8 v[90:93], a[18:19], a[146:147], v[90:93]// 000000003234: D3D7005A 1D6B2512
	ds_read_b128 a[80:83], v50 offset:35072                    // 00000000323C: DBFE8900 50000032
	v_mfma_i32_16x16x32_i8 v[90:93], a[20:21], a[148:149], v[90:93]// 000000003244: D3D7005A 1D6B2914
	s_add_u32 m0, 0x900, s54                                   // 00000000324C: 807C36FF 00000900
	buffer_load_dword v43, s[4:7], 0 offen lds                 // 000000003254: E0511000 8001002B
	v_mfma_i32_16x16x32_i8 v[90:93], a[22:23], a[150:151], v[90:93]// 00000000325C: D3D7005A 1D6B2D16
	ds_read_b128 a[84:87], v50 offset:35136                    // 000000003264: DBFE8940 54000032
	v_mfma_i32_16x16x32_i8 v[94:97], a[24:25], a[144:145], v[94:97]// 00000000326C: D3D7005E 1D7B2118
	v_mfma_i32_16x16x32_i8 v[94:97], a[26:27], a[146:147], v[94:97]// 000000003274: D3D7005E 1D7B251A
	v_mfma_i32_16x16x32_i8 v[94:97], a[28:29], a[148:149], v[94:97]// 00000000327C: D3D7005E 1D7B291C
	v_mfma_i32_16x16x32_i8 v[94:97], a[30:31], a[150:151], v[94:97]// 000000003284: D3D7005E 1D7B2D1E
	v_mfma_i32_16x16x32_i8 v[98:101], a[16:17], a[152:153], v[98:101]// 00000000328C: D3D70062 1D8B3110
	s_add_u32 m0, 0xa00, s54                                   // 000000003294: 807C36FF 00000A00
	buffer_load_dword v44, s[4:7], 0 offen lds                 // 00000000329C: E0511000 8001002C
	v_mfma_i32_16x16x32_i8 v[98:101], a[18:19], a[154:155], v[98:101]// 0000000032A4: D3D70062 1D8B3512
	ds_read_b128 a[88:91], v50 offset:35584                    // 0000000032AC: DBFE8B00 58000032
	v_mfma_i32_16x16x32_i8 v[98:101], a[20:21], a[156:157], v[98:101]// 0000000032B4: D3D70062 1D8B3914
	s_add_u32 m0, 0xb00, s54                                   // 0000000032BC: 807C36FF 00000B00
	buffer_load_dword v45, s[4:7], 0 offen lds                 // 0000000032C4: E0511000 8001002D
	v_mfma_i32_16x16x32_i8 v[98:101], a[22:23], a[158:159], v[98:101]// 0000000032CC: D3D70062 1D8B3D16
	ds_read_b128 a[92:95], v50 offset:35648                    // 0000000032D4: DBFE8B40 5C000032
	v_mfma_i32_16x16x32_i8 v[102:105], a[24:25], a[152:153], v[102:105]// 0000000032DC: D3D70066 1D9B3118
	v_mfma_i32_16x16x32_i8 v[102:105], a[26:27], a[154:155], v[102:105]// 0000000032E4: D3D70066 1D9B351A
	v_mfma_i32_16x16x32_i8 v[102:105], a[28:29], a[156:157], v[102:105]// 0000000032EC: D3D70066 1D9B391C
	v_mfma_i32_16x16x32_i8 v[102:105], a[30:31], a[158:159], v[102:105]// 0000000032F4: D3D70066 1D9B3D1E
	v_mfma_i32_16x16x32_i8 v[106:109], a[16:17], a[160:161], v[106:109]// 0000000032FC: D3D7006A 1DAB4110
	s_add_u32 m0, 0xc00, s54                                   // 000000003304: 807C36FF 00000C00
	buffer_load_dword v46, s[4:7], 0 offen lds                 // 00000000330C: E0511000 8001002E
	v_mfma_i32_16x16x32_i8 v[106:109], a[18:19], a[162:163], v[106:109]// 000000003314: D3D7006A 1DAB4512
	ds_read_b128 a[96:99], v50 offset:36096                    // 00000000331C: DBFE8D00 60000032
	v_mfma_i32_16x16x32_i8 v[106:109], a[20:21], a[164:165], v[106:109]// 000000003324: D3D7006A 1DAB4914
	s_add_u32 m0, 0xd00, s54                                   // 00000000332C: 807C36FF 00000D00
	buffer_load_dword v47, s[4:7], 0 offen lds                 // 000000003334: E0511000 8001002F
	v_mfma_i32_16x16x32_i8 v[106:109], a[22:23], a[166:167], v[106:109]// 00000000333C: D3D7006A 1DAB4D16
	ds_read_b128 a[100:103], v50 offset:36160                  // 000000003344: DBFE8D40 64000032
	v_mfma_i32_16x16x32_i8 v[110:113], a[24:25], a[160:161], v[110:113]// 00000000334C: D3D7006E 1DBB4118
	v_mfma_i32_16x16x32_i8 v[110:113], a[26:27], a[162:163], v[110:113]// 000000003354: D3D7006E 1DBB451A
	v_mfma_i32_16x16x32_i8 v[110:113], a[28:29], a[164:165], v[110:113]// 00000000335C: D3D7006E 1DBB491C
	v_mfma_i32_16x16x32_i8 v[110:113], a[30:31], a[166:167], v[110:113]// 000000003364: D3D7006E 1DBB4D1E
	v_mfma_i32_16x16x32_i8 v[114:117], a[16:17], a[168:169], v[114:117]// 00000000336C: D3D70072 1DCB5110
	s_add_u32 m0, 0xe00, s54                                   // 000000003374: 807C36FF 00000E00
	buffer_load_dword v48, s[4:7], 0 offen lds                 // 00000000337C: E0511000 80010030
	v_mfma_i32_16x16x32_i8 v[114:117], a[18:19], a[170:171], v[114:117]// 000000003384: D3D70072 1DCB5512
	ds_read_b128 a[104:107], v50 offset:36608                  // 00000000338C: DBFE8F00 68000032
	v_mfma_i32_16x16x32_i8 v[114:117], a[20:21], a[172:173], v[114:117]// 000000003394: D3D70072 1DCB5914
	s_add_u32 m0, 0xf00, s54                                   // 00000000339C: 807C36FF 00000F00
	buffer_load_dword v49, s[4:7], 0 offen lds                 // 0000000033A4: E0511000 80010031
	v_mfma_i32_16x16x32_i8 v[114:117], a[22:23], a[174:175], v[114:117]// 0000000033AC: D3D70072 1DCB5D16
	ds_read_b128 a[108:111], v50 offset:36672                  // 0000000033B4: DBFE8F40 6C000032
	v_mfma_i32_16x16x32_i8 v[118:121], a[24:25], a[168:169], v[118:121]// 0000000033BC: D3D70076 1DDB5118
	v_mfma_i32_16x16x32_i8 v[118:121], a[26:27], a[170:171], v[118:121]// 0000000033C4: D3D70076 1DDB551A
	s_add_u32 s47, 0x200, s39                                  // 0000000033CC: 802F27FF 00000200
	s_cmp_lt_u32 s47, s40                                      // 0000000033D4: BF0A282F
	s_cselect_b32 s51, s51, 0                                  // 0000000033D8: 85338033
	s_add_u32 s47, 0x180, s39                                  // 0000000033DC: 802F27FF 00000180
	s_cmp_lt_u32 s47, s40                                      // 0000000033E4: BF0A282F
	s_cselect_b32 s52, s52, 0                                  // 0000000033E8: 85348034
	v_mfma_i32_16x16x32_i8 v[118:121], a[28:29], a[172:173], v[118:121]// 0000000033EC: D3D70076 1DDB591C
	v_mfma_i32_16x16x32_i8 v[118:121], a[30:31], a[174:175], v[118:121]// 0000000033F4: D3D70076 1DDB5D1E
	s_add_u32 s4, s51, s4                                      // 0000000033FC: 80040433
	s_addc_u32 s5, 0, s5                                       // 000000003400: 82050580
	s_sub_u32 s6, s6, s51                                      // 000000003404: 80863306
	s_add_u32 s8, s52, s8                                      // 000000003408: 80080834
	s_addc_u32 s9, 0, s9                                       // 00000000340C: 82090980
	s_sub_u32 s10, s10, s52                                    // 000000003410: 808A340A
	s_addk_i32 s39, 0x80                                       // 000000003414: B7270080
	s_cmp_lt_i32 s39, s40                                      // 000000003418: BF042827
	s_cbranch_scc0 label_08F1                                  // 00000000341C: BF8403E9
	s_waitcnt vmcnt(20) lgkmcnt(0)                             // 000000003420: BF8C4074
	s_barrier                                                  // 000000003424: BF8A0000
	v_mfma_i32_16x16x32_i8 v[58:61], a[32:33], a[48:49], v[58:61]// 000000003428: D3D7003A 1CEA6120
	s_add_u32 m0, 0, s55                                       // 000000003430: 807C3780
	buffer_load_dword v34, s[4:7], 0 offen lds                 // 000000003434: E0511000 80010022
	v_mfma_i32_16x16x32_i8 v[58:61], a[34:35], a[50:51], v[58:61]// 00000000343C: D3D7003A 1CEA6522
	ds_read_b128 a[112:115], v50                               // 000000003444: DBFE0000 70000032
	v_mfma_i32_16x16x32_i8 v[58:61], a[36:37], a[52:53], v[58:61]// 00000000344C: D3D7003A 1CEA6924
	s_add_u32 m0, 0x100, s55                                   // 000000003454: 807C37FF 00000100
	buffer_load_dword v35, s[4:7], 0 offen lds                 // 00000000345C: E0511000 80010023
	v_mfma_i32_16x16x32_i8 v[58:61], a[38:39], a[54:55], v[58:61]// 000000003464: D3D7003A 1CEA6D26
	ds_read_b128 a[116:119], v50 offset:64                     // 00000000346C: DBFE0040 74000032
	v_mfma_i32_16x16x32_i8 v[62:65], a[40:41], a[48:49], v[62:65]// 000000003474: D3D7003E 1CFA6128
	buffer_load_dwordx4 a[16:19], v52, s[8:11], 0 offen        // 00000000347C: E05C1000 80821034
	v_mfma_i32_16x16x32_i8 v[62:65], a[42:43], a[50:51], v[62:65]// 000000003484: D3D7003E 1CFA652A
	v_mfma_i32_16x16x32_i8 v[62:65], a[44:45], a[52:53], v[62:65]// 00000000348C: D3D7003E 1CFA692C
	buffer_load_dwordx4 a[20:23], v53, s[8:11], 0 offen        // 000000003494: E05C1000 80821435
	v_mfma_i32_16x16x32_i8 v[62:65], a[46:47], a[54:55], v[62:65]// 00000000349C: D3D7003E 1CFA6D2E
	v_mfma_i32_16x16x32_i8 v[66:69], a[32:33], a[56:57], v[66:69]// 0000000034A4: D3D70042 1D0A7120
	s_add_u32 m0, 0x200, s55                                   // 0000000034AC: 807C37FF 00000200
	buffer_load_dword v36, s[4:7], 0 offen lds                 // 0000000034B4: E0511000 80010024
	v_mfma_i32_16x16x32_i8 v[66:69], a[34:35], a[58:59], v[66:69]// 0000000034BC: D3D70042 1D0A7522
	ds_read_b128 a[120:123], v50 offset:512                    // 0000000034C4: DBFE0200 78000032
	v_mfma_i32_16x16x32_i8 v[66:69], a[36:37], a[60:61], v[66:69]// 0000000034CC: D3D70042 1D0A7924
	s_add_u32 m0, 0x300, s55                                   // 0000000034D4: 807C37FF 00000300
	buffer_load_dword v37, s[4:7], 0 offen lds                 // 0000000034DC: E0511000 80010025
	v_mfma_i32_16x16x32_i8 v[66:69], a[38:39], a[62:63], v[66:69]// 0000000034E4: D3D70042 1D0A7D26
	ds_read_b128 a[124:127], v50 offset:576                    // 0000000034EC: DBFE0240 7C000032
	v_mfma_i32_16x16x32_i8 v[70:73], a[40:41], a[56:57], v[70:73]// 0000000034F4: D3D70046 1D1A7128
	buffer_load_dwordx4 a[24:27], v54, s[8:11], 0 offen        // 0000000034FC: E05C1000 80821836
	v_mfma_i32_16x16x32_i8 v[70:73], a[42:43], a[58:59], v[70:73]// 000000003504: D3D70046 1D1A752A
	v_mfma_i32_16x16x32_i8 v[70:73], a[44:45], a[60:61], v[70:73]// 00000000350C: D3D70046 1D1A792C
	buffer_load_dwordx4 a[28:31], v55, s[8:11], 0 offen        // 000000003514: E05C1000 80821C37
	v_mfma_i32_16x16x32_i8 v[70:73], a[46:47], a[62:63], v[70:73]// 00000000351C: D3D70046 1D1A7D2E
	v_mfma_i32_16x16x32_i8 v[74:77], a[32:33], a[64:65], v[74:77]// 000000003524: D3D7004A 1D2A8120
	s_add_u32 m0, 0x400, s55                                   // 00000000352C: 807C37FF 00000400
	buffer_load_dword v38, s[4:7], 0 offen lds                 // 000000003534: E0511000 80010026
	v_mfma_i32_16x16x32_i8 v[74:77], a[34:35], a[66:67], v[74:77]// 00000000353C: D3D7004A 1D2A8522
	ds_read_b128 a[128:131], v50 offset:1024                   // 000000003544: DBFE0400 80000032
	v_mfma_i32_16x16x32_i8 v[74:77], a[36:37], a[68:69], v[74:77]// 00000000354C: D3D7004A 1D2A8924
	s_add_u32 m0, 0x500, s55                                   // 000000003554: 807C37FF 00000500
	buffer_load_dword v39, s[4:7], 0 offen lds                 // 00000000355C: E0511000 80010027
	v_mfma_i32_16x16x32_i8 v[74:77], a[38:39], a[70:71], v[74:77]// 000000003564: D3D7004A 1D2A8D26
	ds_read_b128 a[132:135], v50 offset:1088                   // 00000000356C: DBFE0440 84000032
	v_mfma_i32_16x16x32_i8 v[78:81], a[40:41], a[64:65], v[78:81]// 000000003574: D3D7004E 1D3A8128
	v_mfma_i32_16x16x32_i8 v[78:81], a[42:43], a[66:67], v[78:81]// 00000000357C: D3D7004E 1D3A852A
	v_mfma_i32_16x16x32_i8 v[78:81], a[44:45], a[68:69], v[78:81]// 000000003584: D3D7004E 1D3A892C
	v_mfma_i32_16x16x32_i8 v[78:81], a[46:47], a[70:71], v[78:81]// 00000000358C: D3D7004E 1D3A8D2E
	v_mfma_i32_16x16x32_i8 v[82:85], a[32:33], a[72:73], v[82:85]// 000000003594: D3D70052 1D4A9120
	s_add_u32 m0, 0x600, s55                                   // 00000000359C: 807C37FF 00000600
	buffer_load_dword v40, s[4:7], 0 offen lds                 // 0000000035A4: E0511000 80010028
	v_mfma_i32_16x16x32_i8 v[82:85], a[34:35], a[74:75], v[82:85]// 0000000035AC: D3D70052 1D4A9522
	ds_read_b128 a[136:139], v50 offset:1536                   // 0000000035B4: DBFE0600 88000032
	v_mfma_i32_16x16x32_i8 v[82:85], a[36:37], a[76:77], v[82:85]// 0000000035BC: D3D70052 1D4A9924
	s_add_u32 m0, 0x700, s55                                   // 0000000035C4: 807C37FF 00000700
	buffer_load_dword v41, s[4:7], 0 offen lds                 // 0000000035CC: E0511000 80010029
	v_mfma_i32_16x16x32_i8 v[82:85], a[38:39], a[78:79], v[82:85]// 0000000035D4: D3D70052 1D4A9D26
	ds_read_b128 a[140:143], v50 offset:1600                   // 0000000035DC: DBFE0640 8C000032
	v_mfma_i32_16x16x32_i8 v[86:89], a[40:41], a[72:73], v[86:89]// 0000000035E4: D3D70056 1D5A9128
	v_mfma_i32_16x16x32_i8 v[86:89], a[42:43], a[74:75], v[86:89]// 0000000035EC: D3D70056 1D5A952A
	v_mfma_i32_16x16x32_i8 v[86:89], a[44:45], a[76:77], v[86:89]// 0000000035F4: D3D70056 1D5A992C
	v_mfma_i32_16x16x32_i8 v[86:89], a[46:47], a[78:79], v[86:89]// 0000000035FC: D3D70056 1D5A9D2E
	v_mfma_i32_16x16x32_i8 v[90:93], a[32:33], a[80:81], v[90:93]// 000000003604: D3D7005A 1D6AA120
	s_add_u32 m0, 0x800, s55                                   // 00000000360C: 807C37FF 00000800
	buffer_load_dword v42, s[4:7], 0 offen lds                 // 000000003614: E0511000 8001002A
	v_mfma_i32_16x16x32_i8 v[90:93], a[34:35], a[82:83], v[90:93]// 00000000361C: D3D7005A 1D6AA522
	ds_read_b128 a[144:147], v50 offset:2048                   // 000000003624: DBFE0800 90000032
	v_mfma_i32_16x16x32_i8 v[90:93], a[36:37], a[84:85], v[90:93]// 00000000362C: D3D7005A 1D6AA924
	s_add_u32 m0, 0x900, s55                                   // 000000003634: 807C37FF 00000900
	buffer_load_dword v43, s[4:7], 0 offen lds                 // 00000000363C: E0511000 8001002B
	v_mfma_i32_16x16x32_i8 v[90:93], a[38:39], a[86:87], v[90:93]// 000000003644: D3D7005A 1D6AAD26
	ds_read_b128 a[148:151], v50 offset:2112                   // 00000000364C: DBFE0840 94000032
	v_mfma_i32_16x16x32_i8 v[94:97], a[40:41], a[80:81], v[94:97]// 000000003654: D3D7005E 1D7AA128
	v_mfma_i32_16x16x32_i8 v[94:97], a[42:43], a[82:83], v[94:97]// 00000000365C: D3D7005E 1D7AA52A
	v_mfma_i32_16x16x32_i8 v[94:97], a[44:45], a[84:85], v[94:97]// 000000003664: D3D7005E 1D7AA92C
	v_mfma_i32_16x16x32_i8 v[94:97], a[46:47], a[86:87], v[94:97]// 00000000366C: D3D7005E 1D7AAD2E
	v_mfma_i32_16x16x32_i8 v[98:101], a[32:33], a[88:89], v[98:101]// 000000003674: D3D70062 1D8AB120
	s_add_u32 m0, 0xa00, s55                                   // 00000000367C: 807C37FF 00000A00
	buffer_load_dword v44, s[4:7], 0 offen lds                 // 000000003684: E0511000 8001002C
	v_mfma_i32_16x16x32_i8 v[98:101], a[34:35], a[90:91], v[98:101]// 00000000368C: D3D70062 1D8AB522
	ds_read_b128 a[152:155], v50 offset:2560                   // 000000003694: DBFE0A00 98000032
	v_mfma_i32_16x16x32_i8 v[98:101], a[36:37], a[92:93], v[98:101]// 00000000369C: D3D70062 1D8AB924
	s_add_u32 m0, 0xb00, s55                                   // 0000000036A4: 807C37FF 00000B00
	buffer_load_dword v45, s[4:7], 0 offen lds                 // 0000000036AC: E0511000 8001002D
	v_mfma_i32_16x16x32_i8 v[98:101], a[38:39], a[94:95], v[98:101]// 0000000036B4: D3D70062 1D8ABD26
	ds_read_b128 a[156:159], v50 offset:2624                   // 0000000036BC: DBFE0A40 9C000032
	v_mfma_i32_16x16x32_i8 v[102:105], a[40:41], a[88:89], v[102:105]// 0000000036C4: D3D70066 1D9AB128
	v_mfma_i32_16x16x32_i8 v[102:105], a[42:43], a[90:91], v[102:105]// 0000000036CC: D3D70066 1D9AB52A
	v_mfma_i32_16x16x32_i8 v[102:105], a[44:45], a[92:93], v[102:105]// 0000000036D4: D3D70066 1D9AB92C
	v_mfma_i32_16x16x32_i8 v[102:105], a[46:47], a[94:95], v[102:105]// 0000000036DC: D3D70066 1D9ABD2E
	v_mfma_i32_16x16x32_i8 v[106:109], a[32:33], a[96:97], v[106:109]// 0000000036E4: D3D7006A 1DAAC120
	s_add_u32 m0, 0xc00, s55                                   // 0000000036EC: 807C37FF 00000C00
	buffer_load_dword v46, s[4:7], 0 offen lds                 // 0000000036F4: E0511000 8001002E
	v_mfma_i32_16x16x32_i8 v[106:109], a[34:35], a[98:99], v[106:109]// 0000000036FC: D3D7006A 1DAAC522
	ds_read_b128 a[160:163], v50 offset:3072                   // 000000003704: DBFE0C00 A0000032
	v_mfma_i32_16x16x32_i8 v[106:109], a[36:37], a[100:101], v[106:109]// 00000000370C: D3D7006A 1DAAC924
	s_add_u32 m0, 0xd00, s55                                   // 000000003714: 807C37FF 00000D00
	buffer_load_dword v47, s[4:7], 0 offen lds                 // 00000000371C: E0511000 8001002F
	v_mfma_i32_16x16x32_i8 v[106:109], a[38:39], a[102:103], v[106:109]// 000000003724: D3D7006A 1DAACD26
	ds_read_b128 a[164:167], v50 offset:3136                   // 00000000372C: DBFE0C40 A4000032
	v_mfma_i32_16x16x32_i8 v[110:113], a[40:41], a[96:97], v[110:113]// 000000003734: D3D7006E 1DBAC128
	v_mfma_i32_16x16x32_i8 v[110:113], a[42:43], a[98:99], v[110:113]// 00000000373C: D3D7006E 1DBAC52A
	v_mfma_i32_16x16x32_i8 v[110:113], a[44:45], a[100:101], v[110:113]// 000000003744: D3D7006E 1DBAC92C
	v_mfma_i32_16x16x32_i8 v[110:113], a[46:47], a[102:103], v[110:113]// 00000000374C: D3D7006E 1DBACD2E
	v_mfma_i32_16x16x32_i8 v[114:117], a[32:33], a[104:105], v[114:117]// 000000003754: D3D70072 1DCAD120
	s_add_u32 m0, 0xe00, s55                                   // 00000000375C: 807C37FF 00000E00
	buffer_load_dword v48, s[4:7], 0 offen lds                 // 000000003764: E0511000 80010030
	v_mfma_i32_16x16x32_i8 v[114:117], a[34:35], a[106:107], v[114:117]// 00000000376C: D3D70072 1DCAD522
	ds_read_b128 a[168:171], v50 offset:3584                   // 000000003774: DBFE0E00 A8000032
	v_mfma_i32_16x16x32_i8 v[114:117], a[36:37], a[108:109], v[114:117]// 00000000377C: D3D70072 1DCAD924
	s_add_u32 m0, 0xf00, s55                                   // 000000003784: 807C37FF 00000F00
	buffer_load_dword v49, s[4:7], 0 offen lds                 // 00000000378C: E0511000 80010031
	v_mfma_i32_16x16x32_i8 v[114:117], a[38:39], a[110:111], v[114:117]// 000000003794: D3D70072 1DCADD26
	ds_read_b128 a[172:175], v50 offset:3648                   // 00000000379C: DBFE0E40 AC000032
	v_mfma_i32_16x16x32_i8 v[118:121], a[40:41], a[104:105], v[118:121]// 0000000037A4: D3D70076 1DDAD128
	v_mfma_i32_16x16x32_i8 v[118:121], a[42:43], a[106:107], v[118:121]// 0000000037AC: D3D70076 1DDAD52A
	s_add_u32 s47, 0x200, s39                                  // 0000000037B4: 802F27FF 00000200
	s_cmp_lt_u32 s47, s40                                      // 0000000037BC: BF0A282F
	s_cselect_b32 s51, s51, 0                                  // 0000000037C0: 85338033
	s_add_u32 s47, 0x180, s39                                  // 0000000037C4: 802F27FF 00000180
	s_cmp_lt_u32 s47, s40                                      // 0000000037CC: BF0A282F
	s_cselect_b32 s52, s52, 0                                  // 0000000037D0: 85348034
	v_mfma_i32_16x16x32_i8 v[118:121], a[44:45], a[108:109], v[118:121]// 0000000037D4: D3D70076 1DDAD92C
	v_mfma_i32_16x16x32_i8 v[118:121], a[46:47], a[110:111], v[118:121]// 0000000037DC: D3D70076 1DDADD2E
	s_add_u32 s4, s51, s4                                      // 0000000037E4: 80040433
	s_addc_u32 s5, 0, s5                                       // 0000000037E8: 82050580
	s_sub_u32 s6, s6, s51                                      // 0000000037EC: 80863306
	s_add_u32 s8, s52, s8                                      // 0000000037F0: 80080834
	s_addc_u32 s9, 0, s9                                       // 0000000037F4: 82090980
	s_sub_u32 s10, s10, s52                                    // 0000000037F8: 808A340A
	s_addk_i32 s39, 0x80                                       // 0000000037FC: B7270080
	s_cmp_lt_i32 s39, s40                                      // 000000003800: BF042827
	s_cbranch_scc0 label_08F1                                  // 000000003804: BF8402EF
	s_waitcnt vmcnt(20) lgkmcnt(0)                             // 000000003808: BF8C4074
	s_barrier                                                  // 00000000380C: BF8A0000
	v_mfma_i32_16x16x32_i8 v[58:61], a[0:1], a[112:113], v[58:61]// 000000003810: D3D7003A 1CEAE100
	s_add_u32 m0, 0, s53                                       // 000000003818: 807C3580
	buffer_load_dword v34, s[4:7], 0 offen lds                 // 00000000381C: E0511000 80010022
	v_mfma_i32_16x16x32_i8 v[58:61], a[2:3], a[114:115], v[58:61]// 000000003824: D3D7003A 1CEAE502
	ds_read_b128 a[48:51], v50 offset:16512                    // 00000000382C: DBFE4080 30000032
	v_mfma_i32_16x16x32_i8 v[58:61], a[4:5], a[116:117], v[58:61]// 000000003834: D3D7003A 1CEAE904
	s_add_u32 m0, 0x100, s53                                   // 00000000383C: 807C35FF 00000100
	buffer_load_dword v35, s[4:7], 0 offen lds                 // 000000003844: E0511000 80010023
	v_mfma_i32_16x16x32_i8 v[58:61], a[6:7], a[118:119], v[58:61]// 00000000384C: D3D7003A 1CEAED06
	ds_read_b128 a[52:55], v50 offset:16576                    // 000000003854: DBFE40C0 34000032
	v_mfma_i32_16x16x32_i8 v[62:65], a[8:9], a[112:113], v[62:65]// 00000000385C: D3D7003E 1CFAE108
	buffer_load_dwordx4 a[32:35], v52, s[8:11], 0 offen        // 000000003864: E05C1000 80822034
	v_mfma_i32_16x16x32_i8 v[62:65], a[10:11], a[114:115], v[62:65]// 00000000386C: D3D7003E 1CFAE50A
	v_mfma_i32_16x16x32_i8 v[62:65], a[12:13], a[116:117], v[62:65]// 000000003874: D3D7003E 1CFAE90C
	buffer_load_dwordx4 a[36:39], v53, s[8:11], 0 offen        // 00000000387C: E05C1000 80822435
	v_mfma_i32_16x16x32_i8 v[62:65], a[14:15], a[118:119], v[62:65]// 000000003884: D3D7003E 1CFAED0E
	v_mfma_i32_16x16x32_i8 v[66:69], a[0:1], a[120:121], v[66:69]// 00000000388C: D3D70042 1D0AF100
	s_add_u32 m0, 0x200, s53                                   // 000000003894: 807C35FF 00000200
	buffer_load_dword v36, s[4:7], 0 offen lds                 // 00000000389C: E0511000 80010024
	v_mfma_i32_16x16x32_i8 v[66:69], a[2:3], a[122:123], v[66:69]// 0000000038A4: D3D70042 1D0AF502
	ds_read_b128 a[56:59], v50 offset:17024                    // 0000000038AC: DBFE4280 38000032
	v_mfma_i32_16x16x32_i8 v[66:69], a[4:5], a[124:125], v[66:69]// 0000000038B4: D3D70042 1D0AF904
	s_add_u32 m0, 0x300, s53                                   // 0000000038BC: 807C35FF 00000300
	buffer_load_dword v37, s[4:7], 0 offen lds                 // 0000000038C4: E0511000 80010025
	v_mfma_i32_16x16x32_i8 v[66:69], a[6:7], a[126:127], v[66:69]// 0000000038CC: D3D70042 1D0AFD06
	ds_read_b128 a[60:63], v50 offset:17088                    // 0000000038D4: DBFE42C0 3C000032
	v_mfma_i32_16x16x32_i8 v[70:73], a[8:9], a[120:121], v[70:73]// 0000000038DC: D3D70046 1D1AF108
	buffer_load_dwordx4 a[40:43], v54, s[8:11], 0 offen        // 0000000038E4: E05C1000 80822836
	v_mfma_i32_16x16x32_i8 v[70:73], a[10:11], a[122:123], v[70:73]// 0000000038EC: D3D70046 1D1AF50A
	v_mfma_i32_16x16x32_i8 v[70:73], a[12:13], a[124:125], v[70:73]// 0000000038F4: D3D70046 1D1AF90C
	buffer_load_dwordx4 a[44:47], v55, s[8:11], 0 offen        // 0000000038FC: E05C1000 80822C37
	v_mfma_i32_16x16x32_i8 v[70:73], a[14:15], a[126:127], v[70:73]// 000000003904: D3D70046 1D1AFD0E
	v_mfma_i32_16x16x32_i8 v[74:77], a[0:1], a[128:129], v[74:77]// 00000000390C: D3D7004A 1D2B0100
	s_add_u32 m0, 0x400, s53                                   // 000000003914: 807C35FF 00000400
	buffer_load_dword v38, s[4:7], 0 offen lds                 // 00000000391C: E0511000 80010026
	v_mfma_i32_16x16x32_i8 v[74:77], a[2:3], a[130:131], v[74:77]// 000000003924: D3D7004A 1D2B0502
	ds_read_b128 a[64:67], v50 offset:17536                    // 00000000392C: DBFE4480 40000032
	v_mfma_i32_16x16x32_i8 v[74:77], a[4:5], a[132:133], v[74:77]// 000000003934: D3D7004A 1D2B0904
	s_add_u32 m0, 0x500, s53                                   // 00000000393C: 807C35FF 00000500
	buffer_load_dword v39, s[4:7], 0 offen lds                 // 000000003944: E0511000 80010027
	v_mfma_i32_16x16x32_i8 v[74:77], a[6:7], a[134:135], v[74:77]// 00000000394C: D3D7004A 1D2B0D06
	ds_read_b128 a[68:71], v50 offset:17600                    // 000000003954: DBFE44C0 44000032
	v_mfma_i32_16x16x32_i8 v[78:81], a[8:9], a[128:129], v[78:81]// 00000000395C: D3D7004E 1D3B0108
	v_mfma_i32_16x16x32_i8 v[78:81], a[10:11], a[130:131], v[78:81]// 000000003964: D3D7004E 1D3B050A
	v_mfma_i32_16x16x32_i8 v[78:81], a[12:13], a[132:133], v[78:81]// 00000000396C: D3D7004E 1D3B090C
	v_mfma_i32_16x16x32_i8 v[78:81], a[14:15], a[134:135], v[78:81]// 000000003974: D3D7004E 1D3B0D0E
	v_mfma_i32_16x16x32_i8 v[82:85], a[0:1], a[136:137], v[82:85]// 00000000397C: D3D70052 1D4B1100
	s_add_u32 m0, 0x600, s53                                   // 000000003984: 807C35FF 00000600
	buffer_load_dword v40, s[4:7], 0 offen lds                 // 00000000398C: E0511000 80010028
	v_mfma_i32_16x16x32_i8 v[82:85], a[2:3], a[138:139], v[82:85]// 000000003994: D3D70052 1D4B1502
	ds_read_b128 a[72:75], v50 offset:18048                    // 00000000399C: DBFE4680 48000032
	v_mfma_i32_16x16x32_i8 v[82:85], a[4:5], a[140:141], v[82:85]// 0000000039A4: D3D70052 1D4B1904
	s_add_u32 m0, 0x700, s53                                   // 0000000039AC: 807C35FF 00000700
	buffer_load_dword v41, s[4:7], 0 offen lds                 // 0000000039B4: E0511000 80010029
	v_mfma_i32_16x16x32_i8 v[82:85], a[6:7], a[142:143], v[82:85]// 0000000039BC: D3D70052 1D4B1D06
	ds_read_b128 a[76:79], v50 offset:18112                    // 0000000039C4: DBFE46C0 4C000032
	v_mfma_i32_16x16x32_i8 v[86:89], a[8:9], a[136:137], v[86:89]// 0000000039CC: D3D70056 1D5B1108
	v_mfma_i32_16x16x32_i8 v[86:89], a[10:11], a[138:139], v[86:89]// 0000000039D4: D3D70056 1D5B150A
	v_mfma_i32_16x16x32_i8 v[86:89], a[12:13], a[140:141], v[86:89]// 0000000039DC: D3D70056 1D5B190C
	v_mfma_i32_16x16x32_i8 v[86:89], a[14:15], a[142:143], v[86:89]// 0000000039E4: D3D70056 1D5B1D0E
	v_mfma_i32_16x16x32_i8 v[90:93], a[0:1], a[144:145], v[90:93]// 0000000039EC: D3D7005A 1D6B2100
	s_add_u32 m0, 0x800, s53                                   // 0000000039F4: 807C35FF 00000800
	buffer_load_dword v42, s[4:7], 0 offen lds                 // 0000000039FC: E0511000 8001002A
	v_mfma_i32_16x16x32_i8 v[90:93], a[2:3], a[146:147], v[90:93]// 000000003A04: D3D7005A 1D6B2502
	ds_read_b128 a[80:83], v50 offset:18560                    // 000000003A0C: DBFE4880 50000032
	v_mfma_i32_16x16x32_i8 v[90:93], a[4:5], a[148:149], v[90:93]// 000000003A14: D3D7005A 1D6B2904
	s_add_u32 m0, 0x900, s53                                   // 000000003A1C: 807C35FF 00000900
	buffer_load_dword v43, s[4:7], 0 offen lds                 // 000000003A24: E0511000 8001002B
	v_mfma_i32_16x16x32_i8 v[90:93], a[6:7], a[150:151], v[90:93]// 000000003A2C: D3D7005A 1D6B2D06
	ds_read_b128 a[84:87], v50 offset:18624                    // 000000003A34: DBFE48C0 54000032
	v_mfma_i32_16x16x32_i8 v[94:97], a[8:9], a[144:145], v[94:97]// 000000003A3C: D3D7005E 1D7B2108
	v_mfma_i32_16x16x32_i8 v[94:97], a[10:11], a[146:147], v[94:97]// 000000003A44: D3D7005E 1D7B250A
	v_mfma_i32_16x16x32_i8 v[94:97], a[12:13], a[148:149], v[94:97]// 000000003A4C: D3D7005E 1D7B290C
	v_mfma_i32_16x16x32_i8 v[94:97], a[14:15], a[150:151], v[94:97]// 000000003A54: D3D7005E 1D7B2D0E
	v_mfma_i32_16x16x32_i8 v[98:101], a[0:1], a[152:153], v[98:101]// 000000003A5C: D3D70062 1D8B3100
	s_add_u32 m0, 0xa00, s53                                   // 000000003A64: 807C35FF 00000A00
	buffer_load_dword v44, s[4:7], 0 offen lds                 // 000000003A6C: E0511000 8001002C
	v_mfma_i32_16x16x32_i8 v[98:101], a[2:3], a[154:155], v[98:101]// 000000003A74: D3D70062 1D8B3502
	ds_read_b128 a[88:91], v50 offset:19072                    // 000000003A7C: DBFE4A80 58000032
	v_mfma_i32_16x16x32_i8 v[98:101], a[4:5], a[156:157], v[98:101]// 000000003A84: D3D70062 1D8B3904
	s_add_u32 m0, 0xb00, s53                                   // 000000003A8C: 807C35FF 00000B00
	buffer_load_dword v45, s[4:7], 0 offen lds                 // 000000003A94: E0511000 8001002D
	v_mfma_i32_16x16x32_i8 v[98:101], a[6:7], a[158:159], v[98:101]// 000000003A9C: D3D70062 1D8B3D06
	ds_read_b128 a[92:95], v50 offset:19136                    // 000000003AA4: DBFE4AC0 5C000032
	v_mfma_i32_16x16x32_i8 v[102:105], a[8:9], a[152:153], v[102:105]// 000000003AAC: D3D70066 1D9B3108
	v_mfma_i32_16x16x32_i8 v[102:105], a[10:11], a[154:155], v[102:105]// 000000003AB4: D3D70066 1D9B350A
	v_mfma_i32_16x16x32_i8 v[102:105], a[12:13], a[156:157], v[102:105]// 000000003ABC: D3D70066 1D9B390C
	v_mfma_i32_16x16x32_i8 v[102:105], a[14:15], a[158:159], v[102:105]// 000000003AC4: D3D70066 1D9B3D0E
	v_mfma_i32_16x16x32_i8 v[106:109], a[0:1], a[160:161], v[106:109]// 000000003ACC: D3D7006A 1DAB4100
	s_add_u32 m0, 0xc00, s53                                   // 000000003AD4: 807C35FF 00000C00
	buffer_load_dword v46, s[4:7], 0 offen lds                 // 000000003ADC: E0511000 8001002E
	v_mfma_i32_16x16x32_i8 v[106:109], a[2:3], a[162:163], v[106:109]// 000000003AE4: D3D7006A 1DAB4502
	ds_read_b128 a[96:99], v50 offset:19584                    // 000000003AEC: DBFE4C80 60000032
	v_mfma_i32_16x16x32_i8 v[106:109], a[4:5], a[164:165], v[106:109]// 000000003AF4: D3D7006A 1DAB4904
	s_add_u32 m0, 0xd00, s53                                   // 000000003AFC: 807C35FF 00000D00
	buffer_load_dword v47, s[4:7], 0 offen lds                 // 000000003B04: E0511000 8001002F
	v_mfma_i32_16x16x32_i8 v[106:109], a[6:7], a[166:167], v[106:109]// 000000003B0C: D3D7006A 1DAB4D06
	ds_read_b128 a[100:103], v50 offset:19648                  // 000000003B14: DBFE4CC0 64000032
	v_mfma_i32_16x16x32_i8 v[110:113], a[8:9], a[160:161], v[110:113]// 000000003B1C: D3D7006E 1DBB4108
	v_mfma_i32_16x16x32_i8 v[110:113], a[10:11], a[162:163], v[110:113]// 000000003B24: D3D7006E 1DBB450A
	v_mfma_i32_16x16x32_i8 v[110:113], a[12:13], a[164:165], v[110:113]// 000000003B2C: D3D7006E 1DBB490C
	v_mfma_i32_16x16x32_i8 v[110:113], a[14:15], a[166:167], v[110:113]// 000000003B34: D3D7006E 1DBB4D0E
	v_mfma_i32_16x16x32_i8 v[114:117], a[0:1], a[168:169], v[114:117]// 000000003B3C: D3D70072 1DCB5100
	s_add_u32 m0, 0xe00, s53                                   // 000000003B44: 807C35FF 00000E00
	buffer_load_dword v48, s[4:7], 0 offen lds                 // 000000003B4C: E0511000 80010030
	v_mfma_i32_16x16x32_i8 v[114:117], a[2:3], a[170:171], v[114:117]// 000000003B54: D3D70072 1DCB5502
	ds_read_b128 a[104:107], v50 offset:20096                  // 000000003B5C: DBFE4E80 68000032
	v_mfma_i32_16x16x32_i8 v[114:117], a[4:5], a[172:173], v[114:117]// 000000003B64: D3D70072 1DCB5904
	s_add_u32 m0, 0xf00, s53                                   // 000000003B6C: 807C35FF 00000F00
	buffer_load_dword v49, s[4:7], 0 offen lds                 // 000000003B74: E0511000 80010031
	v_mfma_i32_16x16x32_i8 v[114:117], a[6:7], a[174:175], v[114:117]// 000000003B7C: D3D70072 1DCB5D06
	ds_read_b128 a[108:111], v50 offset:20160                  // 000000003B84: DBFE4EC0 6C000032
	v_mfma_i32_16x16x32_i8 v[118:121], a[8:9], a[168:169], v[118:121]// 000000003B8C: D3D70076 1DDB5108
	v_mfma_i32_16x16x32_i8 v[118:121], a[10:11], a[170:171], v[118:121]// 000000003B94: D3D70076 1DDB550A
	s_add_u32 s47, 0x200, s39                                  // 000000003B9C: 802F27FF 00000200
	s_cmp_lt_u32 s47, s40                                      // 000000003BA4: BF0A282F
	s_cselect_b32 s51, s51, 0                                  // 000000003BA8: 85338033
	s_add_u32 s47, 0x180, s39                                  // 000000003BAC: 802F27FF 00000180
	s_cmp_lt_u32 s47, s40                                      // 000000003BB4: BF0A282F
	s_cselect_b32 s52, s52, 0                                  // 000000003BB8: 85348034
	v_mfma_i32_16x16x32_i8 v[118:121], a[12:13], a[172:173], v[118:121]// 000000003BBC: D3D70076 1DDB590C
	v_mfma_i32_16x16x32_i8 v[118:121], a[14:15], a[174:175], v[118:121]// 000000003BC4: D3D70076 1DDB5D0E
	s_add_u32 s4, s51, s4                                      // 000000003BCC: 80040433
	s_addc_u32 s5, 0, s5                                       // 000000003BD0: 82050580
	s_sub_u32 s6, s6, s51                                      // 000000003BD4: 80863306
	s_add_u32 s8, s52, s8                                      // 000000003BD8: 80080834
	s_addc_u32 s9, 0, s9                                       // 000000003BDC: 82090980
	s_sub_u32 s10, s10, s52                                    // 000000003BE0: 808A340A
	s_addk_i32 s39, 0x80                                       // 000000003BE4: B7270080
	s_cmp_lt_i32 s39, s40                                      // 000000003BE8: BF042827
	s_cbranch_scc0 label_08F1                                  // 000000003BEC: BF8401F5
	s_waitcnt vmcnt(20) lgkmcnt(0)                             // 000000003BF0: BF8C4074
	s_barrier                                                  // 000000003BF4: BF8A0000
	v_mfma_i32_16x16x32_i8 v[58:61], a[16:17], a[48:49], v[58:61]// 000000003BF8: D3D7003A 1CEA6110
	s_add_u32 m0, 0, s54                                       // 000000003C00: 807C3680
	buffer_load_dword v34, s[4:7], 0 offen lds                 // 000000003C04: E0511000 80010022
	v_mfma_i32_16x16x32_i8 v[58:61], a[18:19], a[50:51], v[58:61]// 000000003C0C: D3D7003A 1CEA6512
	ds_read_b128 a[112:115], v50 offset:33024                  // 000000003C14: DBFE8100 70000032
	v_mfma_i32_16x16x32_i8 v[58:61], a[20:21], a[52:53], v[58:61]// 000000003C1C: D3D7003A 1CEA6914
	s_add_u32 m0, 0x100, s54                                   // 000000003C24: 807C36FF 00000100
	buffer_load_dword v35, s[4:7], 0 offen lds                 // 000000003C2C: E0511000 80010023
	v_mfma_i32_16x16x32_i8 v[58:61], a[22:23], a[54:55], v[58:61]// 000000003C34: D3D7003A 1CEA6D16
	ds_read_b128 a[116:119], v50 offset:33088                  // 000000003C3C: DBFE8140 74000032
	v_mfma_i32_16x16x32_i8 v[62:65], a[24:25], a[48:49], v[62:65]// 000000003C44: D3D7003E 1CFA6118
	buffer_load_dwordx4 a[0:3], v52, s[8:11], 0 offen          // 000000003C4C: E05C1000 80820034
	v_mfma_i32_16x16x32_i8 v[62:65], a[26:27], a[50:51], v[62:65]// 000000003C54: D3D7003E 1CFA651A
	v_mfma_i32_16x16x32_i8 v[62:65], a[28:29], a[52:53], v[62:65]// 000000003C5C: D3D7003E 1CFA691C
	buffer_load_dwordx4 a[4:7], v53, s[8:11], 0 offen          // 000000003C64: E05C1000 80820435
	v_mfma_i32_16x16x32_i8 v[62:65], a[30:31], a[54:55], v[62:65]// 000000003C6C: D3D7003E 1CFA6D1E
	v_mfma_i32_16x16x32_i8 v[66:69], a[16:17], a[56:57], v[66:69]// 000000003C74: D3D70042 1D0A7110
	s_add_u32 m0, 0x200, s54                                   // 000000003C7C: 807C36FF 00000200
	buffer_load_dword v36, s[4:7], 0 offen lds                 // 000000003C84: E0511000 80010024
	v_mfma_i32_16x16x32_i8 v[66:69], a[18:19], a[58:59], v[66:69]// 000000003C8C: D3D70042 1D0A7512
	ds_read_b128 a[120:123], v50 offset:33536                  // 000000003C94: DBFE8300 78000032
	v_mfma_i32_16x16x32_i8 v[66:69], a[20:21], a[60:61], v[66:69]// 000000003C9C: D3D70042 1D0A7914
	s_add_u32 m0, 0x300, s54                                   // 000000003CA4: 807C36FF 00000300
	buffer_load_dword v37, s[4:7], 0 offen lds                 // 000000003CAC: E0511000 80010025
	v_mfma_i32_16x16x32_i8 v[66:69], a[22:23], a[62:63], v[66:69]// 000000003CB4: D3D70042 1D0A7D16
	ds_read_b128 a[124:127], v50 offset:33600                  // 000000003CBC: DBFE8340 7C000032
	v_mfma_i32_16x16x32_i8 v[70:73], a[24:25], a[56:57], v[70:73]// 000000003CC4: D3D70046 1D1A7118
	buffer_load_dwordx4 a[8:11], v54, s[8:11], 0 offen         // 000000003CCC: E05C1000 80820836
	v_mfma_i32_16x16x32_i8 v[70:73], a[26:27], a[58:59], v[70:73]// 000000003CD4: D3D70046 1D1A751A
	v_mfma_i32_16x16x32_i8 v[70:73], a[28:29], a[60:61], v[70:73]// 000000003CDC: D3D70046 1D1A791C
	buffer_load_dwordx4 a[12:15], v55, s[8:11], 0 offen        // 000000003CE4: E05C1000 80820C37
	v_mfma_i32_16x16x32_i8 v[70:73], a[30:31], a[62:63], v[70:73]// 000000003CEC: D3D70046 1D1A7D1E
	v_mfma_i32_16x16x32_i8 v[74:77], a[16:17], a[64:65], v[74:77]// 000000003CF4: D3D7004A 1D2A8110
	s_add_u32 m0, 0x400, s54                                   // 000000003CFC: 807C36FF 00000400
	buffer_load_dword v38, s[4:7], 0 offen lds                 // 000000003D04: E0511000 80010026
	v_mfma_i32_16x16x32_i8 v[74:77], a[18:19], a[66:67], v[74:77]// 000000003D0C: D3D7004A 1D2A8512
	ds_read_b128 a[128:131], v50 offset:34048                  // 000000003D14: DBFE8500 80000032
	v_mfma_i32_16x16x32_i8 v[74:77], a[20:21], a[68:69], v[74:77]// 000000003D1C: D3D7004A 1D2A8914
	s_add_u32 m0, 0x500, s54                                   // 000000003D24: 807C36FF 00000500
	buffer_load_dword v39, s[4:7], 0 offen lds                 // 000000003D2C: E0511000 80010027
	v_mfma_i32_16x16x32_i8 v[74:77], a[22:23], a[70:71], v[74:77]// 000000003D34: D3D7004A 1D2A8D16
	ds_read_b128 a[132:135], v50 offset:34112                  // 000000003D3C: DBFE8540 84000032
	v_mfma_i32_16x16x32_i8 v[78:81], a[24:25], a[64:65], v[78:81]// 000000003D44: D3D7004E 1D3A8118
	v_mfma_i32_16x16x32_i8 v[78:81], a[26:27], a[66:67], v[78:81]// 000000003D4C: D3D7004E 1D3A851A
	v_mfma_i32_16x16x32_i8 v[78:81], a[28:29], a[68:69], v[78:81]// 000000003D54: D3D7004E 1D3A891C
	v_mfma_i32_16x16x32_i8 v[78:81], a[30:31], a[70:71], v[78:81]// 000000003D5C: D3D7004E 1D3A8D1E
	v_mfma_i32_16x16x32_i8 v[82:85], a[16:17], a[72:73], v[82:85]// 000000003D64: D3D70052 1D4A9110
	s_add_u32 m0, 0x600, s54                                   // 000000003D6C: 807C36FF 00000600
	buffer_load_dword v40, s[4:7], 0 offen lds                 // 000000003D74: E0511000 80010028
	v_mfma_i32_16x16x32_i8 v[82:85], a[18:19], a[74:75], v[82:85]// 000000003D7C: D3D70052 1D4A9512
	ds_read_b128 a[136:139], v50 offset:34560                  // 000000003D84: DBFE8700 88000032
	v_mfma_i32_16x16x32_i8 v[82:85], a[20:21], a[76:77], v[82:85]// 000000003D8C: D3D70052 1D4A9914
	s_add_u32 m0, 0x700, s54                                   // 000000003D94: 807C36FF 00000700
	buffer_load_dword v41, s[4:7], 0 offen lds                 // 000000003D9C: E0511000 80010029
	v_mfma_i32_16x16x32_i8 v[82:85], a[22:23], a[78:79], v[82:85]// 000000003DA4: D3D70052 1D4A9D16
	ds_read_b128 a[140:143], v50 offset:34624                  // 000000003DAC: DBFE8740 8C000032
	v_mfma_i32_16x16x32_i8 v[86:89], a[24:25], a[72:73], v[86:89]// 000000003DB4: D3D70056 1D5A9118
	v_mfma_i32_16x16x32_i8 v[86:89], a[26:27], a[74:75], v[86:89]// 000000003DBC: D3D70056 1D5A951A
	v_mfma_i32_16x16x32_i8 v[86:89], a[28:29], a[76:77], v[86:89]// 000000003DC4: D3D70056 1D5A991C
	v_mfma_i32_16x16x32_i8 v[86:89], a[30:31], a[78:79], v[86:89]// 000000003DCC: D3D70056 1D5A9D1E
	v_mfma_i32_16x16x32_i8 v[90:93], a[16:17], a[80:81], v[90:93]// 000000003DD4: D3D7005A 1D6AA110
	s_add_u32 m0, 0x800, s54                                   // 000000003DDC: 807C36FF 00000800
	buffer_load_dword v42, s[4:7], 0 offen lds                 // 000000003DE4: E0511000 8001002A
	v_mfma_i32_16x16x32_i8 v[90:93], a[18:19], a[82:83], v[90:93]// 000000003DEC: D3D7005A 1D6AA512
	ds_read_b128 a[144:147], v50 offset:35072                  // 000000003DF4: DBFE8900 90000032
	v_mfma_i32_16x16x32_i8 v[90:93], a[20:21], a[84:85], v[90:93]// 000000003DFC: D3D7005A 1D6AA914
	s_add_u32 m0, 0x900, s54                                   // 000000003E04: 807C36FF 00000900
	buffer_load_dword v43, s[4:7], 0 offen lds                 // 000000003E0C: E0511000 8001002B
	v_mfma_i32_16x16x32_i8 v[90:93], a[22:23], a[86:87], v[90:93]// 000000003E14: D3D7005A 1D6AAD16
	ds_read_b128 a[148:151], v50 offset:35136                  // 000000003E1C: DBFE8940 94000032
	v_mfma_i32_16x16x32_i8 v[94:97], a[24:25], a[80:81], v[94:97]// 000000003E24: D3D7005E 1D7AA118
	v_mfma_i32_16x16x32_i8 v[94:97], a[26:27], a[82:83], v[94:97]// 000000003E2C: D3D7005E 1D7AA51A
	v_mfma_i32_16x16x32_i8 v[94:97], a[28:29], a[84:85], v[94:97]// 000000003E34: D3D7005E 1D7AA91C
	v_mfma_i32_16x16x32_i8 v[94:97], a[30:31], a[86:87], v[94:97]// 000000003E3C: D3D7005E 1D7AAD1E
	v_mfma_i32_16x16x32_i8 v[98:101], a[16:17], a[88:89], v[98:101]// 000000003E44: D3D70062 1D8AB110
	s_add_u32 m0, 0xa00, s54                                   // 000000003E4C: 807C36FF 00000A00
	buffer_load_dword v44, s[4:7], 0 offen lds                 // 000000003E54: E0511000 8001002C
	v_mfma_i32_16x16x32_i8 v[98:101], a[18:19], a[90:91], v[98:101]// 000000003E5C: D3D70062 1D8AB512
	ds_read_b128 a[152:155], v50 offset:35584                  // 000000003E64: DBFE8B00 98000032
	v_mfma_i32_16x16x32_i8 v[98:101], a[20:21], a[92:93], v[98:101]// 000000003E6C: D3D70062 1D8AB914
	s_add_u32 m0, 0xb00, s54                                   // 000000003E74: 807C36FF 00000B00
	buffer_load_dword v45, s[4:7], 0 offen lds                 // 000000003E7C: E0511000 8001002D
	v_mfma_i32_16x16x32_i8 v[98:101], a[22:23], a[94:95], v[98:101]// 000000003E84: D3D70062 1D8ABD16
	ds_read_b128 a[156:159], v50 offset:35648                  // 000000003E8C: DBFE8B40 9C000032
	v_mfma_i32_16x16x32_i8 v[102:105], a[24:25], a[88:89], v[102:105]// 000000003E94: D3D70066 1D9AB118
	v_mfma_i32_16x16x32_i8 v[102:105], a[26:27], a[90:91], v[102:105]// 000000003E9C: D3D70066 1D9AB51A
	v_mfma_i32_16x16x32_i8 v[102:105], a[28:29], a[92:93], v[102:105]// 000000003EA4: D3D70066 1D9AB91C
	v_mfma_i32_16x16x32_i8 v[102:105], a[30:31], a[94:95], v[102:105]// 000000003EAC: D3D70066 1D9ABD1E
	v_mfma_i32_16x16x32_i8 v[106:109], a[16:17], a[96:97], v[106:109]// 000000003EB4: D3D7006A 1DAAC110
	s_add_u32 m0, 0xc00, s54                                   // 000000003EBC: 807C36FF 00000C00
	buffer_load_dword v46, s[4:7], 0 offen lds                 // 000000003EC4: E0511000 8001002E
	v_mfma_i32_16x16x32_i8 v[106:109], a[18:19], a[98:99], v[106:109]// 000000003ECC: D3D7006A 1DAAC512
	ds_read_b128 a[160:163], v50 offset:36096                  // 000000003ED4: DBFE8D00 A0000032
	v_mfma_i32_16x16x32_i8 v[106:109], a[20:21], a[100:101], v[106:109]// 000000003EDC: D3D7006A 1DAAC914
	s_add_u32 m0, 0xd00, s54                                   // 000000003EE4: 807C36FF 00000D00
	buffer_load_dword v47, s[4:7], 0 offen lds                 // 000000003EEC: E0511000 8001002F
	v_mfma_i32_16x16x32_i8 v[106:109], a[22:23], a[102:103], v[106:109]// 000000003EF4: D3D7006A 1DAACD16
	ds_read_b128 a[164:167], v50 offset:36160                  // 000000003EFC: DBFE8D40 A4000032
	v_mfma_i32_16x16x32_i8 v[110:113], a[24:25], a[96:97], v[110:113]// 000000003F04: D3D7006E 1DBAC118
	v_mfma_i32_16x16x32_i8 v[110:113], a[26:27], a[98:99], v[110:113]// 000000003F0C: D3D7006E 1DBAC51A
	v_mfma_i32_16x16x32_i8 v[110:113], a[28:29], a[100:101], v[110:113]// 000000003F14: D3D7006E 1DBAC91C
	v_mfma_i32_16x16x32_i8 v[110:113], a[30:31], a[102:103], v[110:113]// 000000003F1C: D3D7006E 1DBACD1E
	v_mfma_i32_16x16x32_i8 v[114:117], a[16:17], a[104:105], v[114:117]// 000000003F24: D3D70072 1DCAD110
	s_add_u32 m0, 0xe00, s54                                   // 000000003F2C: 807C36FF 00000E00
	buffer_load_dword v48, s[4:7], 0 offen lds                 // 000000003F34: E0511000 80010030
	v_mfma_i32_16x16x32_i8 v[114:117], a[18:19], a[106:107], v[114:117]// 000000003F3C: D3D70072 1DCAD512
	ds_read_b128 a[168:171], v50 offset:36608                  // 000000003F44: DBFE8F00 A8000032
	v_mfma_i32_16x16x32_i8 v[114:117], a[20:21], a[108:109], v[114:117]// 000000003F4C: D3D70072 1DCAD914
	s_add_u32 m0, 0xf00, s54                                   // 000000003F54: 807C36FF 00000F00
	buffer_load_dword v49, s[4:7], 0 offen lds                 // 000000003F5C: E0511000 80010031
	v_mfma_i32_16x16x32_i8 v[114:117], a[22:23], a[110:111], v[114:117]// 000000003F64: D3D70072 1DCADD16
	ds_read_b128 a[172:175], v50 offset:36672                  // 000000003F6C: DBFE8F40 AC000032
	v_mfma_i32_16x16x32_i8 v[118:121], a[24:25], a[104:105], v[118:121]// 000000003F74: D3D70076 1DDAD118
	v_mfma_i32_16x16x32_i8 v[118:121], a[26:27], a[106:107], v[118:121]// 000000003F7C: D3D70076 1DDAD51A
	s_add_u32 s47, 0x200, s39                                  // 000000003F84: 802F27FF 00000200
	s_cmp_lt_u32 s47, s40                                      // 000000003F8C: BF0A282F
	s_cselect_b32 s51, s51, 0                                  // 000000003F90: 85338033
	s_add_u32 s47, 0x180, s39                                  // 000000003F94: 802F27FF 00000180
	s_cmp_lt_u32 s47, s40                                      // 000000003F9C: BF0A282F
	s_cselect_b32 s52, s52, 0                                  // 000000003FA0: 85348034
	v_mfma_i32_16x16x32_i8 v[118:121], a[28:29], a[108:109], v[118:121]// 000000003FA4: D3D70076 1DDAD91C
	v_mfma_i32_16x16x32_i8 v[118:121], a[30:31], a[110:111], v[118:121]// 000000003FAC: D3D70076 1DDADD1E
	s_add_u32 s4, s51, s4                                      // 000000003FB4: 80040433
	s_addc_u32 s5, 0, s5                                       // 000000003FB8: 82050580
	s_sub_u32 s6, s6, s51                                      // 000000003FBC: 80863306
	s_add_u32 s8, s52, s8                                      // 000000003FC0: 80080834
	s_addc_u32 s9, 0, s9                                       // 000000003FC4: 82090980
	s_sub_u32 s10, s10, s52                                    // 000000003FC8: 808A340A
	s_addk_i32 s39, 0x80                                       // 000000003FCC: B7270080
	s_cmp_lt_i32 s39, s40                                      // 000000003FD0: BF042827
	s_cbranch_scc0 label_08F1                                  // 000000003FD4: BF8400FB
	s_waitcnt vmcnt(20) lgkmcnt(0)                             // 000000003FD8: BF8C4074
	s_barrier                                                  // 000000003FDC: BF8A0000
	v_mfma_i32_16x16x32_i8 v[58:61], a[32:33], a[112:113], v[58:61]// 000000003FE0: D3D7003A 1CEAE120
	s_add_u32 m0, 0, s55                                       // 000000003FE8: 807C3780
	buffer_load_dword v34, s[4:7], 0 offen lds                 // 000000003FEC: E0511000 80010022
	v_mfma_i32_16x16x32_i8 v[58:61], a[34:35], a[114:115], v[58:61]// 000000003FF4: D3D7003A 1CEAE522
	ds_read_b128 a[48:51], v50                                 // 000000003FFC: DBFE0000 30000032
	v_mfma_i32_16x16x32_i8 v[58:61], a[36:37], a[116:117], v[58:61]// 000000004004: D3D7003A 1CEAE924
	s_add_u32 m0, 0x100, s55                                   // 00000000400C: 807C37FF 00000100
	buffer_load_dword v35, s[4:7], 0 offen lds                 // 000000004014: E0511000 80010023
	v_mfma_i32_16x16x32_i8 v[58:61], a[38:39], a[118:119], v[58:61]// 00000000401C: D3D7003A 1CEAED26
	ds_read_b128 a[52:55], v50 offset:64                       // 000000004024: DBFE0040 34000032
	v_mfma_i32_16x16x32_i8 v[62:65], a[40:41], a[112:113], v[62:65]// 00000000402C: D3D7003E 1CFAE128
	buffer_load_dwordx4 a[16:19], v52, s[8:11], 0 offen        // 000000004034: E05C1000 80821034
	v_mfma_i32_16x16x32_i8 v[62:65], a[42:43], a[114:115], v[62:65]// 00000000403C: D3D7003E 1CFAE52A
	v_mfma_i32_16x16x32_i8 v[62:65], a[44:45], a[116:117], v[62:65]// 000000004044: D3D7003E 1CFAE92C
	buffer_load_dwordx4 a[20:23], v53, s[8:11], 0 offen        // 00000000404C: E05C1000 80821435
	v_mfma_i32_16x16x32_i8 v[62:65], a[46:47], a[118:119], v[62:65]// 000000004054: D3D7003E 1CFAED2E
	v_mfma_i32_16x16x32_i8 v[66:69], a[32:33], a[120:121], v[66:69]// 00000000405C: D3D70042 1D0AF120
	s_add_u32 m0, 0x200, s55                                   // 000000004064: 807C37FF 00000200
	buffer_load_dword v36, s[4:7], 0 offen lds                 // 00000000406C: E0511000 80010024
	v_mfma_i32_16x16x32_i8 v[66:69], a[34:35], a[122:123], v[66:69]// 000000004074: D3D70042 1D0AF522
	ds_read_b128 a[56:59], v50 offset:512                      // 00000000407C: DBFE0200 38000032
	v_mfma_i32_16x16x32_i8 v[66:69], a[36:37], a[124:125], v[66:69]// 000000004084: D3D70042 1D0AF924
	s_add_u32 m0, 0x300, s55                                   // 00000000408C: 807C37FF 00000300
	buffer_load_dword v37, s[4:7], 0 offen lds                 // 000000004094: E0511000 80010025
	v_mfma_i32_16x16x32_i8 v[66:69], a[38:39], a[126:127], v[66:69]// 00000000409C: D3D70042 1D0AFD26
	ds_read_b128 a[60:63], v50 offset:576                      // 0000000040A4: DBFE0240 3C000032
	v_mfma_i32_16x16x32_i8 v[70:73], a[40:41], a[120:121], v[70:73]// 0000000040AC: D3D70046 1D1AF128
	buffer_load_dwordx4 a[24:27], v54, s[8:11], 0 offen        // 0000000040B4: E05C1000 80821836
	v_mfma_i32_16x16x32_i8 v[70:73], a[42:43], a[122:123], v[70:73]// 0000000040BC: D3D70046 1D1AF52A
	v_mfma_i32_16x16x32_i8 v[70:73], a[44:45], a[124:125], v[70:73]// 0000000040C4: D3D70046 1D1AF92C
	buffer_load_dwordx4 a[28:31], v55, s[8:11], 0 offen        // 0000000040CC: E05C1000 80821C37
	v_mfma_i32_16x16x32_i8 v[70:73], a[46:47], a[126:127], v[70:73]// 0000000040D4: D3D70046 1D1AFD2E
	v_mfma_i32_16x16x32_i8 v[74:77], a[32:33], a[128:129], v[74:77]// 0000000040DC: D3D7004A 1D2B0120
	s_add_u32 m0, 0x400, s55                                   // 0000000040E4: 807C37FF 00000400
	buffer_load_dword v38, s[4:7], 0 offen lds                 // 0000000040EC: E0511000 80010026
	v_mfma_i32_16x16x32_i8 v[74:77], a[34:35], a[130:131], v[74:77]// 0000000040F4: D3D7004A 1D2B0522
	ds_read_b128 a[64:67], v50 offset:1024                     // 0000000040FC: DBFE0400 40000032
	v_mfma_i32_16x16x32_i8 v[74:77], a[36:37], a[132:133], v[74:77]// 000000004104: D3D7004A 1D2B0924
	s_add_u32 m0, 0x500, s55                                   // 00000000410C: 807C37FF 00000500
	buffer_load_dword v39, s[4:7], 0 offen lds                 // 000000004114: E0511000 80010027
	v_mfma_i32_16x16x32_i8 v[74:77], a[38:39], a[134:135], v[74:77]// 00000000411C: D3D7004A 1D2B0D26
	ds_read_b128 a[68:71], v50 offset:1088                     // 000000004124: DBFE0440 44000032
	v_mfma_i32_16x16x32_i8 v[78:81], a[40:41], a[128:129], v[78:81]// 00000000412C: D3D7004E 1D3B0128
	v_mfma_i32_16x16x32_i8 v[78:81], a[42:43], a[130:131], v[78:81]// 000000004134: D3D7004E 1D3B052A
	v_mfma_i32_16x16x32_i8 v[78:81], a[44:45], a[132:133], v[78:81]// 00000000413C: D3D7004E 1D3B092C
	v_mfma_i32_16x16x32_i8 v[78:81], a[46:47], a[134:135], v[78:81]// 000000004144: D3D7004E 1D3B0D2E
	v_mfma_i32_16x16x32_i8 v[82:85], a[32:33], a[136:137], v[82:85]// 00000000414C: D3D70052 1D4B1120
	s_add_u32 m0, 0x600, s55                                   // 000000004154: 807C37FF 00000600
	buffer_load_dword v40, s[4:7], 0 offen lds                 // 00000000415C: E0511000 80010028
	v_mfma_i32_16x16x32_i8 v[82:85], a[34:35], a[138:139], v[82:85]// 000000004164: D3D70052 1D4B1522
	ds_read_b128 a[72:75], v50 offset:1536                     // 00000000416C: DBFE0600 48000032
	v_mfma_i32_16x16x32_i8 v[82:85], a[36:37], a[140:141], v[82:85]// 000000004174: D3D70052 1D4B1924
	s_add_u32 m0, 0x700, s55                                   // 00000000417C: 807C37FF 00000700
	buffer_load_dword v41, s[4:7], 0 offen lds                 // 000000004184: E0511000 80010029
	v_mfma_i32_16x16x32_i8 v[82:85], a[38:39], a[142:143], v[82:85]// 00000000418C: D3D70052 1D4B1D26
	ds_read_b128 a[76:79], v50 offset:1600                     // 000000004194: DBFE0640 4C000032
	v_mfma_i32_16x16x32_i8 v[86:89], a[40:41], a[136:137], v[86:89]// 00000000419C: D3D70056 1D5B1128
	v_mfma_i32_16x16x32_i8 v[86:89], a[42:43], a[138:139], v[86:89]// 0000000041A4: D3D70056 1D5B152A
	v_mfma_i32_16x16x32_i8 v[86:89], a[44:45], a[140:141], v[86:89]// 0000000041AC: D3D70056 1D5B192C
	v_mfma_i32_16x16x32_i8 v[86:89], a[46:47], a[142:143], v[86:89]// 0000000041B4: D3D70056 1D5B1D2E
	v_mfma_i32_16x16x32_i8 v[90:93], a[32:33], a[144:145], v[90:93]// 0000000041BC: D3D7005A 1D6B2120
	s_add_u32 m0, 0x800, s55                                   // 0000000041C4: 807C37FF 00000800
	buffer_load_dword v42, s[4:7], 0 offen lds                 // 0000000041CC: E0511000 8001002A
	v_mfma_i32_16x16x32_i8 v[90:93], a[34:35], a[146:147], v[90:93]// 0000000041D4: D3D7005A 1D6B2522
	ds_read_b128 a[80:83], v50 offset:2048                     // 0000000041DC: DBFE0800 50000032
	v_mfma_i32_16x16x32_i8 v[90:93], a[36:37], a[148:149], v[90:93]// 0000000041E4: D3D7005A 1D6B2924
	s_add_u32 m0, 0x900, s55                                   // 0000000041EC: 807C37FF 00000900
	buffer_load_dword v43, s[4:7], 0 offen lds                 // 0000000041F4: E0511000 8001002B
	v_mfma_i32_16x16x32_i8 v[90:93], a[38:39], a[150:151], v[90:93]// 0000000041FC: D3D7005A 1D6B2D26
	ds_read_b128 a[84:87], v50 offset:2112                     // 000000004204: DBFE0840 54000032
	v_mfma_i32_16x16x32_i8 v[94:97], a[40:41], a[144:145], v[94:97]// 00000000420C: D3D7005E 1D7B2128
	v_mfma_i32_16x16x32_i8 v[94:97], a[42:43], a[146:147], v[94:97]// 000000004214: D3D7005E 1D7B252A
	v_mfma_i32_16x16x32_i8 v[94:97], a[44:45], a[148:149], v[94:97]// 00000000421C: D3D7005E 1D7B292C
	v_mfma_i32_16x16x32_i8 v[94:97], a[46:47], a[150:151], v[94:97]// 000000004224: D3D7005E 1D7B2D2E
	v_mfma_i32_16x16x32_i8 v[98:101], a[32:33], a[152:153], v[98:101]// 00000000422C: D3D70062 1D8B3120
	s_add_u32 m0, 0xa00, s55                                   // 000000004234: 807C37FF 00000A00
	buffer_load_dword v44, s[4:7], 0 offen lds                 // 00000000423C: E0511000 8001002C
	v_mfma_i32_16x16x32_i8 v[98:101], a[34:35], a[154:155], v[98:101]// 000000004244: D3D70062 1D8B3522
	ds_read_b128 a[88:91], v50 offset:2560                     // 00000000424C: DBFE0A00 58000032
	v_mfma_i32_16x16x32_i8 v[98:101], a[36:37], a[156:157], v[98:101]// 000000004254: D3D70062 1D8B3924
	s_add_u32 m0, 0xb00, s55                                   // 00000000425C: 807C37FF 00000B00
	buffer_load_dword v45, s[4:7], 0 offen lds                 // 000000004264: E0511000 8001002D
	v_mfma_i32_16x16x32_i8 v[98:101], a[38:39], a[158:159], v[98:101]// 00000000426C: D3D70062 1D8B3D26
	ds_read_b128 a[92:95], v50 offset:2624                     // 000000004274: DBFE0A40 5C000032
	v_mfma_i32_16x16x32_i8 v[102:105], a[40:41], a[152:153], v[102:105]// 00000000427C: D3D70066 1D9B3128
	v_mfma_i32_16x16x32_i8 v[102:105], a[42:43], a[154:155], v[102:105]// 000000004284: D3D70066 1D9B352A
	v_mfma_i32_16x16x32_i8 v[102:105], a[44:45], a[156:157], v[102:105]// 00000000428C: D3D70066 1D9B392C
	v_mfma_i32_16x16x32_i8 v[102:105], a[46:47], a[158:159], v[102:105]// 000000004294: D3D70066 1D9B3D2E
	v_mfma_i32_16x16x32_i8 v[106:109], a[32:33], a[160:161], v[106:109]// 00000000429C: D3D7006A 1DAB4120
	s_add_u32 m0, 0xc00, s55                                   // 0000000042A4: 807C37FF 00000C00
	buffer_load_dword v46, s[4:7], 0 offen lds                 // 0000000042AC: E0511000 8001002E
	v_mfma_i32_16x16x32_i8 v[106:109], a[34:35], a[162:163], v[106:109]// 0000000042B4: D3D7006A 1DAB4522
	ds_read_b128 a[96:99], v50 offset:3072                     // 0000000042BC: DBFE0C00 60000032
	v_mfma_i32_16x16x32_i8 v[106:109], a[36:37], a[164:165], v[106:109]// 0000000042C4: D3D7006A 1DAB4924
	s_add_u32 m0, 0xd00, s55                                   // 0000000042CC: 807C37FF 00000D00
	buffer_load_dword v47, s[4:7], 0 offen lds                 // 0000000042D4: E0511000 8001002F
	v_mfma_i32_16x16x32_i8 v[106:109], a[38:39], a[166:167], v[106:109]// 0000000042DC: D3D7006A 1DAB4D26
	ds_read_b128 a[100:103], v50 offset:3136                   // 0000000042E4: DBFE0C40 64000032
	v_mfma_i32_16x16x32_i8 v[110:113], a[40:41], a[160:161], v[110:113]// 0000000042EC: D3D7006E 1DBB4128
	v_mfma_i32_16x16x32_i8 v[110:113], a[42:43], a[162:163], v[110:113]// 0000000042F4: D3D7006E 1DBB452A
	v_mfma_i32_16x16x32_i8 v[110:113], a[44:45], a[164:165], v[110:113]// 0000000042FC: D3D7006E 1DBB492C
	v_mfma_i32_16x16x32_i8 v[110:113], a[46:47], a[166:167], v[110:113]// 000000004304: D3D7006E 1DBB4D2E
	v_mfma_i32_16x16x32_i8 v[114:117], a[32:33], a[168:169], v[114:117]// 00000000430C: D3D70072 1DCB5120
	s_add_u32 m0, 0xe00, s55                                   // 000000004314: 807C37FF 00000E00
	buffer_load_dword v48, s[4:7], 0 offen lds                 // 00000000431C: E0511000 80010030
	v_mfma_i32_16x16x32_i8 v[114:117], a[34:35], a[170:171], v[114:117]// 000000004324: D3D70072 1DCB5522
	ds_read_b128 a[104:107], v50 offset:3584                   // 00000000432C: DBFE0E00 68000032
	v_mfma_i32_16x16x32_i8 v[114:117], a[36:37], a[172:173], v[114:117]// 000000004334: D3D70072 1DCB5924
	s_add_u32 m0, 0xf00, s55                                   // 00000000433C: 807C37FF 00000F00
	buffer_load_dword v49, s[4:7], 0 offen lds                 // 000000004344: E0511000 80010031
	v_mfma_i32_16x16x32_i8 v[114:117], a[38:39], a[174:175], v[114:117]// 00000000434C: D3D70072 1DCB5D26
	ds_read_b128 a[108:111], v50 offset:3648                   // 000000004354: DBFE0E40 6C000032
	v_mfma_i32_16x16x32_i8 v[118:121], a[40:41], a[168:169], v[118:121]// 00000000435C: D3D70076 1DDB5128
	v_mfma_i32_16x16x32_i8 v[118:121], a[42:43], a[170:171], v[118:121]// 000000004364: D3D70076 1DDB552A
	s_add_u32 s47, 0x200, s39                                  // 00000000436C: 802F27FF 00000200
	s_cmp_lt_u32 s47, s40                                      // 000000004374: BF0A282F
	s_cselect_b32 s51, s51, 0                                  // 000000004378: 85338033
	s_add_u32 s47, 0x180, s39                                  // 00000000437C: 802F27FF 00000180
	s_cmp_lt_u32 s47, s40                                      // 000000004384: BF0A282F
	s_cselect_b32 s52, s52, 0                                  // 000000004388: 85348034
	v_mfma_i32_16x16x32_i8 v[118:121], a[44:45], a[172:173], v[118:121]// 00000000438C: D3D70076 1DDB592C
	v_mfma_i32_16x16x32_i8 v[118:121], a[46:47], a[174:175], v[118:121]// 000000004394: D3D70076 1DDB5D2E
	s_add_u32 s4, s51, s4                                      // 00000000439C: 80040433
	s_addc_u32 s5, 0, s5                                       // 0000000043A0: 82050580
	s_sub_u32 s6, s6, s51                                      // 0000000043A4: 80863306
	s_add_u32 s8, s52, s8                                      // 0000000043A8: 80080834
	s_addc_u32 s9, 0, s9                                       // 0000000043AC: 82090980
	s_sub_u32 s10, s10, s52                                    // 0000000043B0: 808A340A
	s_addk_i32 s39, 0x80                                       // 0000000043B4: B7270080
	s_cmp_lt_i32 s39, s40                                      // 0000000043B8: BF042827
	s_cbranch_scc0 label_08F1                                  // 0000000043BC: BF840001
	s_branch label_0314                                        // 0000000043C0: BF82FA23

00000000000043c4 <label_08F1>:
	s_cmp_eq_u32 s38, 1                                        // 0000000043C4: BF068126
	s_cbranch_scc1 label_0B9B                                  // 0000000043C8: BF8502A8
	v_cvt_f32_i32_e32 v58, v58                                 // 0000000043CC: 7E740B3A
	v_cvt_f32_i32_e32 v59, v59                                 // 0000000043D0: 7E760B3B
	v_pk_mul_f32 v[58:59], v[58:59], v[170:171]                // 0000000043D4: D3B1403A 1803553A
	v_fma_f32 v58, v58, v154, v184                             // 0000000043DC: D1CB003A 06E3353A
	v_fma_f32 v59, v59, v154, v185                             // 0000000043E4: D1CB003B 06E7353B
	v_perm_b32 v122, v59, v58, s45                             // 0000000043EC: D1ED007A 00B6753B
	v_cvt_f32_i32_e32 v60, v60                                 // 0000000043F4: 7E780B3C
	v_cvt_f32_i32_e32 v61, v61                                 // 0000000043F8: 7E7A0B3D
	v_pk_mul_f32 v[60:61], v[60:61], v[172:173]                // 0000000043FC: D3B1403C 1803593C
	v_fma_f32 v60, v60, v154, v186                             // 000000004404: D1CB003C 06EB353C
	v_fma_f32 v61, v61, v154, v187                             // 00000000440C: D1CB003D 06EF353D
	v_perm_b32 v123, v61, v60, s45                             // 000000004414: D1ED007B 00B6793D
	v_cvt_f32_i32_e32 v62, v62                                 // 00000000441C: 7E7C0B3E
	v_cvt_f32_i32_e32 v63, v63                                 // 000000004420: 7E7E0B3F
	v_pk_mul_f32 v[62:63], v[62:63], v[174:175]                // 000000004424: D3B1403E 18035D3E
	v_fma_f32 v62, v62, v154, v188                             // 00000000442C: D1CB003E 06F3353E
	v_fma_f32 v63, v63, v154, v189                             // 000000004434: D1CB003F 06F7353F
	v_perm_b32 v124, v63, v62, s45                             // 00000000443C: D1ED007C 00B67D3F
	v_cvt_f32_i32_e32 v64, v64                                 // 000000004444: 7E800B40
	v_cvt_f32_i32_e32 v65, v65                                 // 000000004448: 7E820B41
	v_pk_mul_f32 v[64:65], v[64:65], v[176:177]                // 00000000444C: D3B14040 18036140
	v_fma_f32 v64, v64, v154, v190                             // 000000004454: D1CB0040 06FB3540
	v_fma_f32 v65, v65, v154, v191                             // 00000000445C: D1CB0041 06FF3541
	v_perm_b32 v125, v65, v64, s45                             // 000000004464: D1ED007D 00B68141
	v_cvt_f32_i32_e32 v66, v66                                 // 00000000446C: 7E840B42
	v_cvt_f32_i32_e32 v67, v67                                 // 000000004470: 7E860B43
	v_pk_mul_f32 v[66:67], v[66:67], v[170:171]                // 000000004474: D3B14042 18035542
	v_fma_f32 v66, v66, v155, v184                             // 00000000447C: D1CB0042 06E33742
	v_fma_f32 v67, v67, v155, v185                             // 000000004484: D1CB0043 06E73743
	v_perm_b32 v126, v67, v66, s45                             // 00000000448C: D1ED007E 00B68543
	v_cvt_f32_i32_e32 v68, v68                                 // 000000004494: 7E880B44
	v_cvt_f32_i32_e32 v69, v69                                 // 000000004498: 7E8A0B45
	v_pk_mul_f32 v[68:69], v[68:69], v[172:173]                // 00000000449C: D3B14044 18035944
	v_fma_f32 v68, v68, v155, v186                             // 0000000044A4: D1CB0044 06EB3744
	v_fma_f32 v69, v69, v155, v187                             // 0000000044AC: D1CB0045 06EF3745
	v_perm_b32 v127, v69, v68, s45                             // 0000000044B4: D1ED007F 00B68945
	v_cvt_f32_i32_e32 v70, v70                                 // 0000000044BC: 7E8C0B46
	v_cvt_f32_i32_e32 v71, v71                                 // 0000000044C0: 7E8E0B47
	v_pk_mul_f32 v[70:71], v[70:71], v[174:175]                // 0000000044C4: D3B14046 18035D46
	v_fma_f32 v70, v70, v155, v188                             // 0000000044CC: D1CB0046 06F33746
	v_fma_f32 v71, v71, v155, v189                             // 0000000044D4: D1CB0047 06F73747
	v_perm_b32 v128, v71, v70, s45                             // 0000000044DC: D1ED0080 00B68D47
	v_cvt_f32_i32_e32 v72, v72                                 // 0000000044E4: 7E900B48
	v_cvt_f32_i32_e32 v73, v73                                 // 0000000044E8: 7E920B49
	v_pk_mul_f32 v[72:73], v[72:73], v[176:177]                // 0000000044EC: D3B14048 18036148
	v_fma_f32 v72, v72, v155, v190                             // 0000000044F4: D1CB0048 06FB3748
	v_fma_f32 v73, v73, v155, v191                             // 0000000044FC: D1CB0049 06FF3749
	v_perm_b32 v129, v73, v72, s45                             // 000000004504: D1ED0081 00B69149
	v_cvt_f32_i32_e32 v74, v74                                 // 00000000450C: 7E940B4A
	v_cvt_f32_i32_e32 v75, v75                                 // 000000004510: 7E960B4B
	v_pk_mul_f32 v[74:75], v[74:75], v[170:171]                // 000000004514: D3B1404A 1803554A
	v_fma_f32 v74, v74, v156, v184                             // 00000000451C: D1CB004A 06E3394A
	v_fma_f32 v75, v75, v156, v185                             // 000000004524: D1CB004B 06E7394B
	v_perm_b32 v130, v75, v74, s45                             // 00000000452C: D1ED0082 00B6954B
	v_cvt_f32_i32_e32 v76, v76                                 // 000000004534: 7E980B4C
	v_cvt_f32_i32_e32 v77, v77                                 // 000000004538: 7E9A0B4D
	v_pk_mul_f32 v[76:77], v[76:77], v[172:173]                // 00000000453C: D3B1404C 1803594C
	v_fma_f32 v76, v76, v156, v186                             // 000000004544: D1CB004C 06EB394C
	v_fma_f32 v77, v77, v156, v187                             // 00000000454C: D1CB004D 06EF394D
	v_perm_b32 v131, v77, v76, s45                             // 000000004554: D1ED0083 00B6994D
	v_cvt_f32_i32_e32 v78, v78                                 // 00000000455C: 7E9C0B4E
	v_cvt_f32_i32_e32 v79, v79                                 // 000000004560: 7E9E0B4F
	v_pk_mul_f32 v[78:79], v[78:79], v[174:175]                // 000000004564: D3B1404E 18035D4E
	v_fma_f32 v78, v78, v156, v188                             // 00000000456C: D1CB004E 06F3394E
	v_fma_f32 v79, v79, v156, v189                             // 000000004574: D1CB004F 06F7394F
	v_perm_b32 v132, v79, v78, s45                             // 00000000457C: D1ED0084 00B69D4F
	v_cvt_f32_i32_e32 v80, v80                                 // 000000004584: 7EA00B50
	v_cvt_f32_i32_e32 v81, v81                                 // 000000004588: 7EA20B51
	v_pk_mul_f32 v[80:81], v[80:81], v[176:177]                // 00000000458C: D3B14050 18036150
	v_fma_f32 v80, v80, v156, v190                             // 000000004594: D1CB0050 06FB3950
	v_fma_f32 v81, v81, v156, v191                             // 00000000459C: D1CB0051 06FF3951
	v_perm_b32 v133, v81, v80, s45                             // 0000000045A4: D1ED0085 00B6A151
	v_cvt_f32_i32_e32 v82, v82                                 // 0000000045AC: 7EA40B52
	v_cvt_f32_i32_e32 v83, v83                                 // 0000000045B0: 7EA60B53
	v_pk_mul_f32 v[82:83], v[82:83], v[170:171]                // 0000000045B4: D3B14052 18035552
	v_fma_f32 v82, v82, v157, v184                             // 0000000045BC: D1CB0052 06E33B52
	v_fma_f32 v83, v83, v157, v185                             // 0000000045C4: D1CB0053 06E73B53
	v_perm_b32 v134, v83, v82, s45                             // 0000000045CC: D1ED0086 00B6A553
	v_cvt_f32_i32_e32 v84, v84                                 // 0000000045D4: 7EA80B54
	v_cvt_f32_i32_e32 v85, v85                                 // 0000000045D8: 7EAA0B55
	v_pk_mul_f32 v[84:85], v[84:85], v[172:173]                // 0000000045DC: D3B14054 18035954
	v_fma_f32 v84, v84, v157, v186                             // 0000000045E4: D1CB0054 06EB3B54
	v_fma_f32 v85, v85, v157, v187                             // 0000000045EC: D1CB0055 06EF3B55
	v_perm_b32 v135, v85, v84, s45                             // 0000000045F4: D1ED0087 00B6A955
	v_cvt_f32_i32_e32 v86, v86                                 // 0000000045FC: 7EAC0B56
	v_cvt_f32_i32_e32 v87, v87                                 // 000000004600: 7EAE0B57
	v_pk_mul_f32 v[86:87], v[86:87], v[174:175]                // 000000004604: D3B14056 18035D56
	v_fma_f32 v86, v86, v157, v188                             // 00000000460C: D1CB0056 06F33B56
	v_fma_f32 v87, v87, v157, v189                             // 000000004614: D1CB0057 06F73B57
	v_perm_b32 v136, v87, v86, s45                             // 00000000461C: D1ED0088 00B6AD57
	v_cvt_f32_i32_e32 v88, v88                                 // 000000004624: 7EB00B58
	v_cvt_f32_i32_e32 v89, v89                                 // 000000004628: 7EB20B59
	v_pk_mul_f32 v[88:89], v[88:89], v[176:177]                // 00000000462C: D3B14058 18036158
	v_fma_f32 v88, v88, v157, v190                             // 000000004634: D1CB0058 06FB3B58
	v_fma_f32 v89, v89, v157, v191                             // 00000000463C: D1CB0059 06FF3B59
	v_perm_b32 v137, v89, v88, s45                             // 000000004644: D1ED0089 00B6B159
	v_cvt_f32_i32_e32 v90, v90                                 // 00000000464C: 7EB40B5A
	v_cvt_f32_i32_e32 v91, v91                                 // 000000004650: 7EB60B5B
	v_pk_mul_f32 v[90:91], v[90:91], v[170:171]                // 000000004654: D3B1405A 1803555A
	v_fma_f32 v90, v90, v158, v184                             // 00000000465C: D1CB005A 06E33D5A
	v_fma_f32 v91, v91, v158, v185                             // 000000004664: D1CB005B 06E73D5B
	v_perm_b32 v138, v91, v90, s45                             // 00000000466C: D1ED008A 00B6B55B
	v_cvt_f32_i32_e32 v92, v92                                 // 000000004674: 7EB80B5C
	v_cvt_f32_i32_e32 v93, v93                                 // 000000004678: 7EBA0B5D
	v_pk_mul_f32 v[92:93], v[92:93], v[172:173]                // 00000000467C: D3B1405C 1803595C
	v_fma_f32 v92, v92, v158, v186                             // 000000004684: D1CB005C 06EB3D5C
	v_fma_f32 v93, v93, v158, v187                             // 00000000468C: D1CB005D 06EF3D5D
	v_perm_b32 v139, v93, v92, s45                             // 000000004694: D1ED008B 00B6B95D
	v_cvt_f32_i32_e32 v94, v94                                 // 00000000469C: 7EBC0B5E
	v_cvt_f32_i32_e32 v95, v95                                 // 0000000046A0: 7EBE0B5F
	v_pk_mul_f32 v[94:95], v[94:95], v[174:175]                // 0000000046A4: D3B1405E 18035D5E
	v_fma_f32 v94, v94, v158, v188                             // 0000000046AC: D1CB005E 06F33D5E
	v_fma_f32 v95, v95, v158, v189                             // 0000000046B4: D1CB005F 06F73D5F
	v_perm_b32 v140, v95, v94, s45                             // 0000000046BC: D1ED008C 00B6BD5F
	v_cvt_f32_i32_e32 v96, v96                                 // 0000000046C4: 7EC00B60
	v_cvt_f32_i32_e32 v97, v97                                 // 0000000046C8: 7EC20B61
	v_pk_mul_f32 v[96:97], v[96:97], v[176:177]                // 0000000046CC: D3B14060 18036160
	v_fma_f32 v96, v96, v158, v190                             // 0000000046D4: D1CB0060 06FB3D60
	v_fma_f32 v97, v97, v158, v191                             // 0000000046DC: D1CB0061 06FF3D61
	v_perm_b32 v141, v97, v96, s45                             // 0000000046E4: D1ED008D 00B6C161
	v_cvt_f32_i32_e32 v98, v98                                 // 0000000046EC: 7EC40B62
	v_cvt_f32_i32_e32 v99, v99                                 // 0000000046F0: 7EC60B63
	v_pk_mul_f32 v[98:99], v[98:99], v[170:171]                // 0000000046F4: D3B14062 18035562
	v_fma_f32 v98, v98, v159, v184                             // 0000000046FC: D1CB0062 06E33F62
	v_fma_f32 v99, v99, v159, v185                             // 000000004704: D1CB0063 06E73F63
	v_perm_b32 v142, v99, v98, s45                             // 00000000470C: D1ED008E 00B6C563
	v_cvt_f32_i32_e32 v100, v100                               // 000000004714: 7EC80B64
	v_cvt_f32_i32_e32 v101, v101                               // 000000004718: 7ECA0B65
	v_pk_mul_f32 v[100:101], v[100:101], v[172:173]            // 00000000471C: D3B14064 18035964
	v_fma_f32 v100, v100, v159, v186                           // 000000004724: D1CB0064 06EB3F64
	v_fma_f32 v101, v101, v159, v187                           // 00000000472C: D1CB0065 06EF3F65
	v_perm_b32 v143, v101, v100, s45                           // 000000004734: D1ED008F 00B6C965
	v_cvt_f32_i32_e32 v102, v102                               // 00000000473C: 7ECC0B66
	v_cvt_f32_i32_e32 v103, v103                               // 000000004740: 7ECE0B67
	v_pk_mul_f32 v[102:103], v[102:103], v[174:175]            // 000000004744: D3B14066 18035D66
	v_fma_f32 v102, v102, v159, v188                           // 00000000474C: D1CB0066 06F33F66
	v_fma_f32 v103, v103, v159, v189                           // 000000004754: D1CB0067 06F73F67
	v_perm_b32 v144, v103, v102, s45                           // 00000000475C: D1ED0090 00B6CD67
	v_cvt_f32_i32_e32 v104, v104                               // 000000004764: 7ED00B68
	v_cvt_f32_i32_e32 v105, v105                               // 000000004768: 7ED20B69
	v_pk_mul_f32 v[104:105], v[104:105], v[176:177]            // 00000000476C: D3B14068 18036168
	v_fma_f32 v104, v104, v159, v190                           // 000000004774: D1CB0068 06FB3F68
	v_fma_f32 v105, v105, v159, v191                           // 00000000477C: D1CB0069 06FF3F69
	v_perm_b32 v145, v105, v104, s45                           // 000000004784: D1ED0091 00B6D169
	v_cvt_f32_i32_e32 v106, v106                               // 00000000478C: 7ED40B6A
	v_cvt_f32_i32_e32 v107, v107                               // 000000004790: 7ED60B6B
	v_pk_mul_f32 v[106:107], v[106:107], v[170:171]            // 000000004794: D3B1406A 1803556A
	v_fma_f32 v106, v106, v160, v184                           // 00000000479C: D1CB006A 06E3416A
	v_fma_f32 v107, v107, v160, v185                           // 0000000047A4: D1CB006B 06E7416B
	v_perm_b32 v146, v107, v106, s45                           // 0000000047AC: D1ED0092 00B6D56B
	v_cvt_f32_i32_e32 v108, v108                               // 0000000047B4: 7ED80B6C
	v_cvt_f32_i32_e32 v109, v109                               // 0000000047B8: 7EDA0B6D
	v_pk_mul_f32 v[108:109], v[108:109], v[172:173]            // 0000000047BC: D3B1406C 1803596C
	v_fma_f32 v108, v108, v160, v186                           // 0000000047C4: D1CB006C 06EB416C
	v_fma_f32 v109, v109, v160, v187                           // 0000000047CC: D1CB006D 06EF416D
	v_perm_b32 v147, v109, v108, s45                           // 0000000047D4: D1ED0093 00B6D96D
	v_cvt_f32_i32_e32 v110, v110                               // 0000000047DC: 7EDC0B6E
	v_cvt_f32_i32_e32 v111, v111                               // 0000000047E0: 7EDE0B6F
	v_pk_mul_f32 v[110:111], v[110:111], v[174:175]            // 0000000047E4: D3B1406E 18035D6E
	v_fma_f32 v110, v110, v160, v188                           // 0000000047EC: D1CB006E 06F3416E
	v_fma_f32 v111, v111, v160, v189                           // 0000000047F4: D1CB006F 06F7416F
	v_perm_b32 v148, v111, v110, s45                           // 0000000047FC: D1ED0094 00B6DD6F
	v_cvt_f32_i32_e32 v112, v112                               // 000000004804: 7EE00B70
	v_cvt_f32_i32_e32 v113, v113                               // 000000004808: 7EE20B71
	v_pk_mul_f32 v[112:113], v[112:113], v[176:177]            // 00000000480C: D3B14070 18036170
	v_fma_f32 v112, v112, v160, v190                           // 000000004814: D1CB0070 06FB4170
	v_fma_f32 v113, v113, v160, v191                           // 00000000481C: D1CB0071 06FF4171
	v_perm_b32 v149, v113, v112, s45                           // 000000004824: D1ED0095 00B6E171
	v_cvt_f32_i32_e32 v114, v114                               // 00000000482C: 7EE40B72
	v_cvt_f32_i32_e32 v115, v115                               // 000000004830: 7EE60B73
	v_pk_mul_f32 v[114:115], v[114:115], v[170:171]            // 000000004834: D3B14072 18035572
	v_fma_f32 v114, v114, v161, v184                           // 00000000483C: D1CB0072 06E34372
	v_fma_f32 v115, v115, v161, v185                           // 000000004844: D1CB0073 06E74373
	v_perm_b32 v150, v115, v114, s45                           // 00000000484C: D1ED0096 00B6E573
	v_cvt_f32_i32_e32 v116, v116                               // 000000004854: 7EE80B74
	v_cvt_f32_i32_e32 v117, v117                               // 000000004858: 7EEA0B75
	v_pk_mul_f32 v[116:117], v[116:117], v[172:173]            // 00000000485C: D3B14074 18035974
	v_fma_f32 v116, v116, v161, v186                           // 000000004864: D1CB0074 06EB4374
	v_fma_f32 v117, v117, v161, v187                           // 00000000486C: D1CB0075 06EF4375
	v_perm_b32 v151, v117, v116, s45                           // 000000004874: D1ED0097 00B6E975
	v_cvt_f32_i32_e32 v118, v118                               // 00000000487C: 7EEC0B76
	v_cvt_f32_i32_e32 v119, v119                               // 000000004880: 7EEE0B77
	v_pk_mul_f32 v[118:119], v[118:119], v[174:175]            // 000000004884: D3B14076 18035D76
	v_fma_f32 v118, v118, v161, v188                           // 00000000488C: D1CB0076 06F34376
	v_fma_f32 v119, v119, v161, v189                           // 000000004894: D1CB0077 06F74377
	v_perm_b32 v152, v119, v118, s45                           // 00000000489C: D1ED0098 00B6ED77
	v_cvt_f32_i32_e32 v120, v120                               // 0000000048A4: 7EF00B78
	v_cvt_f32_i32_e32 v121, v121                               // 0000000048A8: 7EF20B79
	v_pk_mul_f32 v[120:121], v[120:121], v[176:177]            // 0000000048AC: D3B14078 18036178
	v_fma_f32 v120, v120, v161, v190                           // 0000000048B4: D1CB0078 06FB4378
	v_fma_f32 v121, v121, v161, v191                           // 0000000048BC: D1CB0079 06FF4379
	v_perm_b32 v153, v121, v120, s45                           // 0000000048C4: D1ED0099 00B6F179
	v_lshrrev_b32_e32 v4, 4, v0                                // 0000000048CC: 20080084
	v_mul_u32_u24_e32 v50, 34, v4                              // 0000000048D0: 106408A2
	v_and_b32_e32 v4, 15, v0                                   // 0000000048D4: 2608008F
	v_mul_lo_u32 v5, 2, v4                                     // 0000000048D8: D2850005 00020882
	v_add_u32_e32 v50, v5, v50                                 // 0000000048E0: 68646505
	s_mul_i32 s47, s44, 0x110                                  // 0000000048E4: 922FFF2C 00000110
	v_add_u32_e32 v50, s47, v50                                // 0000000048EC: 6864642F
	v_lshlrev_b32_e32 v50, 2, v50                              // 0000000048F0: 24646482
	v_lshrrev_b32_e32 v4, 1, v0                                // 0000000048F4: 20080081
	v_mul_u32_u24_e32 v56, 34, v4                              // 0000000048F8: 107008A2
	v_and_b32_e32 v5, 1, v0                                    // 0000000048FC: 260A0081
	v_add_u32_e32 v56, v5, v56                                 // 000000004900: 68707105
	s_mul_i32 s47, s44, 2                                      // 000000004904: 922F822C
	v_add_u32_e32 v56, s47, v56                                // 000000004908: 6870702F
	v_lshlrev_b32_e32 v56, 2, v56                              // 00000000490C: 24707082
	s_waitcnt vmcnt(0) expcnt(0) lgkmcnt(0)                    // 000000004910: BF8C0000
	s_barrier                                                  // 000000004914: BF8A0000
	ds_write_b64 v50, v[122:123]                               // 000000004918: D89A0000 00007A32
	ds_write_b64 v50, v[124:125] offset:544                    // 000000004920: D89A0220 00007C32
	ds_write_b64 v50, v[126:127] offset:4352                   // 000000004928: D89A1100 00007E32
	ds_write_b64 v50, v[128:129] offset:4896                   // 000000004930: D89A1320 00008032
	ds_write_b64 v50, v[130:131] offset:8704                   // 000000004938: D89A2200 00008232
	ds_write_b64 v50, v[132:133] offset:9248                   // 000000004940: D89A2420 00008432
	ds_write_b64 v50, v[134:135] offset:13056                  // 000000004948: D89A3300 00008632
	ds_write_b64 v50, v[136:137] offset:13600                  // 000000004950: D89A3520 00008832
	ds_write_b64 v50, v[138:139] offset:17408                  // 000000004958: D89A4400 00008A32
	ds_write_b64 v50, v[140:141] offset:17952                  // 000000004960: D89A4620 00008C32
	ds_write_b64 v50, v[142:143] offset:21760                  // 000000004968: D89A5500 00008E32
	ds_write_b64 v50, v[144:145] offset:22304                  // 000000004970: D89A5720 00009032
	ds_write_b64 v50, v[146:147] offset:26112                  // 000000004978: D89A6600 00009232
	ds_write_b64 v50, v[148:149] offset:26656                  // 000000004980: D89A6820 00009432
	ds_write_b64 v50, v[150:151] offset:30464                  // 000000004988: D89A7700 00009632
	ds_write_b64 v50, v[152:153] offset:31008                  // 000000004990: D89A7920 00009832
	s_waitcnt lgkmcnt(0)                                       // 000000004998: BF8CC07F
	s_barrier                                                  // 00000000499C: BF8A0000
	ds_read_b32 v122, v56                                      // 0000000049A0: D86C0000 7A000038
	ds_read_b32 v123, v56 offset:32                            // 0000000049A8: D86C0020 7B000038
	ds_read_b32 v124, v56 offset:64                            // 0000000049B0: D86C0040 7C000038
	ds_read_b32 v125, v56 offset:96                            // 0000000049B8: D86C0060 7D000038
	ds_read_b32 v126, v56 offset:4352                          // 0000000049C0: D86C1100 7E000038
	ds_read_b32 v127, v56 offset:4384                          // 0000000049C8: D86C1120 7F000038
	ds_read_b32 v128, v56 offset:4416                          // 0000000049D0: D86C1140 80000038
	ds_read_b32 v129, v56 offset:4448                          // 0000000049D8: D86C1160 81000038
	ds_read_b32 v130, v56 offset:8704                          // 0000000049E0: D86C2200 82000038
	ds_read_b32 v131, v56 offset:8736                          // 0000000049E8: D86C2220 83000038
	ds_read_b32 v132, v56 offset:8768                          // 0000000049F0: D86C2240 84000038
	ds_read_b32 v133, v56 offset:8800                          // 0000000049F8: D86C2260 85000038
	ds_read_b32 v134, v56 offset:13056                         // 000000004A00: D86C3300 86000038
	ds_read_b32 v135, v56 offset:13088                         // 000000004A08: D86C3320 87000038
	ds_read_b32 v136, v56 offset:13120                         // 000000004A10: D86C3340 88000038
	ds_read_b32 v137, v56 offset:13152                         // 000000004A18: D86C3360 89000038
	ds_read_b32 v138, v56 offset:17408                         // 000000004A20: D86C4400 8A000038
	ds_read_b32 v139, v56 offset:17440                         // 000000004A28: D86C4420 8B000038
	ds_read_b32 v140, v56 offset:17472                         // 000000004A30: D86C4440 8C000038
	ds_read_b32 v141, v56 offset:17504                         // 000000004A38: D86C4460 8D000038
	ds_read_b32 v142, v56 offset:21760                         // 000000004A40: D86C5500 8E000038
	ds_read_b32 v143, v56 offset:21792                         // 000000004A48: D86C5520 8F000038
	ds_read_b32 v144, v56 offset:21824                         // 000000004A50: D86C5540 90000038
	ds_read_b32 v145, v56 offset:21856                         // 000000004A58: D86C5560 91000038
	ds_read_b32 v146, v56 offset:26112                         // 000000004A60: D86C6600 92000038
	ds_read_b32 v147, v56 offset:26144                         // 000000004A68: D86C6620 93000038
	ds_read_b32 v148, v56 offset:26176                         // 000000004A70: D86C6640 94000038
	ds_read_b32 v149, v56 offset:26208                         // 000000004A78: D86C6660 95000038
	ds_read_b32 v150, v56 offset:30464                         // 000000004A80: D86C7700 96000038
	ds_read_b32 v151, v56 offset:30496                         // 000000004A88: D86C7720 97000038
	ds_read_b32 v152, v56 offset:30528                         // 000000004A90: D86C7740 98000038
	ds_read_b32 v153, v56 offset:30560                         // 000000004A98: D86C7760 99000038
	s_waitcnt lgkmcnt(0)                                       // 000000004AA0: BF8CC07F
	s_barrier                                                  // 000000004AA4: BF8A0000
	s_mul_i32 s47, s37, 4                                      // 000000004AA8: 922F8425
	s_mul_i32 s48, s37, 8                                      // 000000004AAC: 92308825
	s_mul_i32 s49, s37, 16                                     // 000000004AB0: 92319025
	v_mov_b32_e32 v4, v24                                      // 000000004AB4: 7E080318
	v_mov_b32_e32 v5, 0                                        // 000000004AB8: 7E0A0280
	v_mov_b32_e32 v7, 0                                        // 000000004ABC: 7E0E0280
	v_mov_b32_e32 v9, 0                                        // 000000004AC0: 7E120280
	v_mov_b32_e32 v11, 0                                       // 000000004AC4: 7E160280
	v_mov_b32_e32 v6, v4                                       // 000000004AC8: 7E0C0304
	v_add_u32_e64 v10, v4, s48                                 // 000000004ACC: D134000A 00006104
	s_cmp_ge_u32 s77, s32                                      // 000000004AD4: BF09204D
	s_cbranch_scc1 label_0CFB                                  // 000000004AD8: BF850244
	global_atomic_pk_add_bf16 v6, v122, s[80:81]               // 000000004ADC: DD488000 00507A06
	v_add_u32_e64 v8, v6, s47                                  // 000000004AE4: D1340008 00005F06
	s_add_i32 s77, s77, 4                                      // 000000004AEC: 814D844D
	s_cmp_ge_u32 s77, s32                                      // 000000004AF0: BF09204D
	s_cbranch_scc1 label_0CFB                                  // 000000004AF4: BF85023D
	global_atomic_pk_add_bf16 v8, v123, s[80:81]               // 000000004AF8: DD488000 00507B08
	s_add_i32 s77, s77, 4                                      // 000000004B00: 814D844D
	s_cmp_ge_u32 s77, s32                                      // 000000004B04: BF09204D
	s_cbranch_scc1 label_0CFB                                  // 000000004B08: BF850238
	global_atomic_pk_add_bf16 v10, v124, s[80:81]              // 000000004B0C: DD488000 00507C0A
	v_add_u32_e64 v12, v10, s47                                // 000000004B14: D134000C 00005F0A
	s_add_i32 s77, s77, 4                                      // 000000004B1C: 814D844D
	s_cmp_ge_u32 s77, s32                                      // 000000004B20: BF09204D
	s_cbranch_scc1 label_0CFB                                  // 000000004B24: BF850231
	global_atomic_pk_add_bf16 v12, v125, s[80:81]              // 000000004B28: DD488000 00507D0C
	s_add_i32 s77, s77, 4                                      // 000000004B30: 814D844D
	v_add_u32_e64 v4, v4, s49                                  // 000000004B34: D1340004 00006304
	v_mov_b32_e32 v6, v4                                       // 000000004B3C: 7E0C0304
	v_add_u32_e64 v10, v4, s48                                 // 000000004B40: D134000A 00006104
	s_cmp_ge_u32 s77, s32                                      // 000000004B48: BF09204D
	s_cbranch_scc1 label_0CFB                                  // 000000004B4C: BF850227
	global_atomic_pk_add_bf16 v6, v126, s[80:81]               // 000000004B50: DD488000 00507E06
	v_add_u32_e64 v8, v6, s47                                  // 000000004B58: D1340008 00005F06
	s_add_i32 s77, s77, 4                                      // 000000004B60: 814D844D
	s_cmp_ge_u32 s77, s32                                      // 000000004B64: BF09204D
	s_cbranch_scc1 label_0CFB                                  // 000000004B68: BF850220
	global_atomic_pk_add_bf16 v8, v127, s[80:81]               // 000000004B6C: DD488000 00507F08
	s_add_i32 s77, s77, 4                                      // 000000004B74: 814D844D
	s_cmp_ge_u32 s77, s32                                      // 000000004B78: BF09204D
	s_cbranch_scc1 label_0CFB                                  // 000000004B7C: BF85021B
	global_atomic_pk_add_bf16 v10, v128, s[80:81]              // 000000004B80: DD488000 0050800A
	v_add_u32_e64 v12, v10, s47                                // 000000004B88: D134000C 00005F0A
	s_add_i32 s77, s77, 4                                      // 000000004B90: 814D844D
	s_cmp_ge_u32 s77, s32                                      // 000000004B94: BF09204D
	s_cbranch_scc1 label_0CFB                                  // 000000004B98: BF850214
	global_atomic_pk_add_bf16 v12, v129, s[80:81]              // 000000004B9C: DD488000 0050810C
	s_add_i32 s77, s77, 4                                      // 000000004BA4: 814D844D
	v_add_u32_e64 v4, v4, s49                                  // 000000004BA8: D1340004 00006304
	v_mov_b32_e32 v6, v4                                       // 000000004BB0: 7E0C0304
	v_add_u32_e64 v10, v4, s48                                 // 000000004BB4: D134000A 00006104
	s_cmp_ge_u32 s77, s32                                      // 000000004BBC: BF09204D
	s_cbranch_scc1 label_0CFB                                  // 000000004BC0: BF85020A
	global_atomic_pk_add_bf16 v6, v130, s[80:81]               // 000000004BC4: DD488000 00508206
	v_add_u32_e64 v8, v6, s47                                  // 000000004BCC: D1340008 00005F06
	s_add_i32 s77, s77, 4                                      // 000000004BD4: 814D844D
	s_cmp_ge_u32 s77, s32                                      // 000000004BD8: BF09204D
	s_cbranch_scc1 label_0CFB                                  // 000000004BDC: BF850203
	global_atomic_pk_add_bf16 v8, v131, s[80:81]               // 000000004BE0: DD488000 00508308
	s_add_i32 s77, s77, 4                                      // 000000004BE8: 814D844D
	s_cmp_ge_u32 s77, s32                                      // 000000004BEC: BF09204D
	s_cbranch_scc1 label_0CFB                                  // 000000004BF0: BF8501FE
	global_atomic_pk_add_bf16 v10, v132, s[80:81]              // 000000004BF4: DD488000 0050840A
	v_add_u32_e64 v12, v10, s47                                // 000000004BFC: D134000C 00005F0A
	s_add_i32 s77, s77, 4                                      // 000000004C04: 814D844D
	s_cmp_ge_u32 s77, s32                                      // 000000004C08: BF09204D
	s_cbranch_scc1 label_0CFB                                  // 000000004C0C: BF8501F7
	global_atomic_pk_add_bf16 v12, v133, s[80:81]              // 000000004C10: DD488000 0050850C
	s_add_i32 s77, s77, 4                                      // 000000004C18: 814D844D
	v_add_u32_e64 v4, v4, s49                                  // 000000004C1C: D1340004 00006304
	v_mov_b32_e32 v6, v4                                       // 000000004C24: 7E0C0304
	v_add_u32_e64 v10, v4, s48                                 // 000000004C28: D134000A 00006104
	s_cmp_ge_u32 s77, s32                                      // 000000004C30: BF09204D
	s_cbranch_scc1 label_0CFB                                  // 000000004C34: BF8501ED
	global_atomic_pk_add_bf16 v6, v134, s[80:81]               // 000000004C38: DD488000 00508606
	v_add_u32_e64 v8, v6, s47                                  // 000000004C40: D1340008 00005F06
	s_add_i32 s77, s77, 4                                      // 000000004C48: 814D844D
	s_cmp_ge_u32 s77, s32                                      // 000000004C4C: BF09204D
	s_cbranch_scc1 label_0CFB                                  // 000000004C50: BF8501E6
	global_atomic_pk_add_bf16 v8, v135, s[80:81]               // 000000004C54: DD488000 00508708
	s_add_i32 s77, s77, 4                                      // 000000004C5C: 814D844D
	s_cmp_ge_u32 s77, s32                                      // 000000004C60: BF09204D
	s_cbranch_scc1 label_0CFB                                  // 000000004C64: BF8501E1
	global_atomic_pk_add_bf16 v10, v136, s[80:81]              // 000000004C68: DD488000 0050880A
	v_add_u32_e64 v12, v10, s47                                // 000000004C70: D134000C 00005F0A
	s_add_i32 s77, s77, 4                                      // 000000004C78: 814D844D
	s_cmp_ge_u32 s77, s32                                      // 000000004C7C: BF09204D
	s_cbranch_scc1 label_0CFB                                  // 000000004C80: BF8501DA
	global_atomic_pk_add_bf16 v12, v137, s[80:81]              // 000000004C84: DD488000 0050890C
	s_add_i32 s77, s77, 4                                      // 000000004C8C: 814D844D
	v_add_u32_e64 v4, v4, s49                                  // 000000004C90: D1340004 00006304
	v_mov_b32_e32 v6, v4                                       // 000000004C98: 7E0C0304
	v_add_u32_e64 v10, v4, s48                                 // 000000004C9C: D134000A 00006104
	s_cmp_ge_u32 s77, s32                                      // 000000004CA4: BF09204D
	s_cbranch_scc1 label_0CFB                                  // 000000004CA8: BF8501D0
	global_atomic_pk_add_bf16 v6, v138, s[80:81]               // 000000004CAC: DD488000 00508A06
	v_add_u32_e64 v8, v6, s47                                  // 000000004CB4: D1340008 00005F06
	s_add_i32 s77, s77, 4                                      // 000000004CBC: 814D844D
	s_cmp_ge_u32 s77, s32                                      // 000000004CC0: BF09204D
	s_cbranch_scc1 label_0CFB                                  // 000000004CC4: BF8501C9
	global_atomic_pk_add_bf16 v8, v139, s[80:81]               // 000000004CC8: DD488000 00508B08
	s_add_i32 s77, s77, 4                                      // 000000004CD0: 814D844D
	s_cmp_ge_u32 s77, s32                                      // 000000004CD4: BF09204D
	s_cbranch_scc1 label_0CFB                                  // 000000004CD8: BF8501C4
	global_atomic_pk_add_bf16 v10, v140, s[80:81]              // 000000004CDC: DD488000 00508C0A
	v_add_u32_e64 v12, v10, s47                                // 000000004CE4: D134000C 00005F0A
	s_add_i32 s77, s77, 4                                      // 000000004CEC: 814D844D
	s_cmp_ge_u32 s77, s32                                      // 000000004CF0: BF09204D
	s_cbranch_scc1 label_0CFB                                  // 000000004CF4: BF8501BD
	global_atomic_pk_add_bf16 v12, v141, s[80:81]              // 000000004CF8: DD488000 00508D0C
	s_add_i32 s77, s77, 4                                      // 000000004D00: 814D844D
	v_add_u32_e64 v4, v4, s49                                  // 000000004D04: D1340004 00006304
	v_mov_b32_e32 v6, v4                                       // 000000004D0C: 7E0C0304
	v_add_u32_e64 v10, v4, s48                                 // 000000004D10: D134000A 00006104
	s_cmp_ge_u32 s77, s32                                      // 000000004D18: BF09204D
	s_cbranch_scc1 label_0CFB                                  // 000000004D1C: BF8501B3
	global_atomic_pk_add_bf16 v6, v142, s[80:81]               // 000000004D20: DD488000 00508E06
	v_add_u32_e64 v8, v6, s47                                  // 000000004D28: D1340008 00005F06
	s_add_i32 s77, s77, 4                                      // 000000004D30: 814D844D
	s_cmp_ge_u32 s77, s32                                      // 000000004D34: BF09204D
	s_cbranch_scc1 label_0CFB                                  // 000000004D38: BF8501AC
	global_atomic_pk_add_bf16 v8, v143, s[80:81]               // 000000004D3C: DD488000 00508F08
	s_add_i32 s77, s77, 4                                      // 000000004D44: 814D844D
	s_cmp_ge_u32 s77, s32                                      // 000000004D48: BF09204D
	s_cbranch_scc1 label_0CFB                                  // 000000004D4C: BF8501A7
	global_atomic_pk_add_bf16 v10, v144, s[80:81]              // 000000004D50: DD488000 0050900A
	v_add_u32_e64 v12, v10, s47                                // 000000004D58: D134000C 00005F0A
	s_add_i32 s77, s77, 4                                      // 000000004D60: 814D844D
	s_cmp_ge_u32 s77, s32                                      // 000000004D64: BF09204D
	s_cbranch_scc1 label_0CFB                                  // 000000004D68: BF8501A0
	global_atomic_pk_add_bf16 v12, v145, s[80:81]              // 000000004D6C: DD488000 0050910C
	s_add_i32 s77, s77, 4                                      // 000000004D74: 814D844D
	v_add_u32_e64 v4, v4, s49                                  // 000000004D78: D1340004 00006304
	v_mov_b32_e32 v6, v4                                       // 000000004D80: 7E0C0304
	v_add_u32_e64 v10, v4, s48                                 // 000000004D84: D134000A 00006104
	s_cmp_ge_u32 s77, s32                                      // 000000004D8C: BF09204D
	s_cbranch_scc1 label_0CFB                                  // 000000004D90: BF850196
	global_atomic_pk_add_bf16 v6, v146, s[80:81]               // 000000004D94: DD488000 00509206
	v_add_u32_e64 v8, v6, s47                                  // 000000004D9C: D1340008 00005F06
	s_add_i32 s77, s77, 4                                      // 000000004DA4: 814D844D
	s_cmp_ge_u32 s77, s32                                      // 000000004DA8: BF09204D
	s_cbranch_scc1 label_0CFB                                  // 000000004DAC: BF85018F
	global_atomic_pk_add_bf16 v8, v147, s[80:81]               // 000000004DB0: DD488000 00509308
	s_add_i32 s77, s77, 4                                      // 000000004DB8: 814D844D
	s_cmp_ge_u32 s77, s32                                      // 000000004DBC: BF09204D
	s_cbranch_scc1 label_0CFB                                  // 000000004DC0: BF85018A
	global_atomic_pk_add_bf16 v10, v148, s[80:81]              // 000000004DC4: DD488000 0050940A
	v_add_u32_e64 v12, v10, s47                                // 000000004DCC: D134000C 00005F0A
	s_add_i32 s77, s77, 4                                      // 000000004DD4: 814D844D
	s_cmp_ge_u32 s77, s32                                      // 000000004DD8: BF09204D
	s_cbranch_scc1 label_0CFB                                  // 000000004DDC: BF850183
	global_atomic_pk_add_bf16 v12, v149, s[80:81]              // 000000004DE0: DD488000 0050950C
	s_add_i32 s77, s77, 4                                      // 000000004DE8: 814D844D
	v_add_u32_e64 v4, v4, s49                                  // 000000004DEC: D1340004 00006304
	v_mov_b32_e32 v6, v4                                       // 000000004DF4: 7E0C0304
	v_add_u32_e64 v10, v4, s48                                 // 000000004DF8: D134000A 00006104
	s_cmp_ge_u32 s77, s32                                      // 000000004E00: BF09204D
	s_cbranch_scc1 label_0CFB                                  // 000000004E04: BF850179
	global_atomic_pk_add_bf16 v6, v150, s[80:81]               // 000000004E08: DD488000 00509606
	v_add_u32_e64 v8, v6, s47                                  // 000000004E10: D1340008 00005F06
	s_add_i32 s77, s77, 4                                      // 000000004E18: 814D844D
	s_cmp_ge_u32 s77, s32                                      // 000000004E1C: BF09204D
	s_cbranch_scc1 label_0CFB                                  // 000000004E20: BF850172
	global_atomic_pk_add_bf16 v8, v151, s[80:81]               // 000000004E24: DD488000 00509708
	s_add_i32 s77, s77, 4                                      // 000000004E2C: 814D844D
	s_cmp_ge_u32 s77, s32                                      // 000000004E30: BF09204D
	s_cbranch_scc1 label_0CFB                                  // 000000004E34: BF85016D
	global_atomic_pk_add_bf16 v10, v152, s[80:81]              // 000000004E38: DD488000 0050980A
	v_add_u32_e64 v12, v10, s47                                // 000000004E40: D134000C 00005F0A
	s_add_i32 s77, s77, 4                                      // 000000004E48: 814D844D
	s_cmp_ge_u32 s77, s32                                      // 000000004E4C: BF09204D
	s_cbranch_scc1 label_0CFB                                  // 000000004E50: BF850166
	global_atomic_pk_add_bf16 v12, v153, s[80:81]              // 000000004E54: DD488000 0050990C
	s_add_i32 s77, s77, 4                                      // 000000004E5C: 814D844D
	v_add_u32_e64 v4, v4, s49                                  // 000000004E60: D1340004 00006304
	s_branch label_0CFB                                        // 000000004E68: BF820160

0000000000004e6c <label_0B9B>:
	v_cvt_f32_i32_e32 v58, v58                                 // 000000004E6C: 7E740B3A
	v_cvt_f32_i32_e32 v59, v59                                 // 000000004E70: 7E760B3B
	v_pk_mul_f32 v[58:59], v[58:59], v[170:171]                // 000000004E74: D3B1403A 1803553A
	v_fma_f32 v58, v58, v154, v184                             // 000000004E7C: D1CB003A 06E3353A
	v_fma_f32 v59, v59, v154, v185                             // 000000004E84: D1CB003B 06E7353B
	v_perm_b32 v122, v59, v58, s45                             // 000000004E8C: D1ED007A 00B6753B
	v_cvt_f32_i32_e32 v60, v60                                 // 000000004E94: 7E780B3C
	v_cvt_f32_i32_e32 v61, v61                                 // 000000004E98: 7E7A0B3D
	v_pk_mul_f32 v[60:61], v[60:61], v[172:173]                // 000000004E9C: D3B1403C 1803593C
	v_fma_f32 v60, v60, v154, v186                             // 000000004EA4: D1CB003C 06EB353C
	v_fma_f32 v61, v61, v154, v187                             // 000000004EAC: D1CB003D 06EF353D
	v_perm_b32 v123, v61, v60, s45                             // 000000004EB4: D1ED007B 00B6793D
	buffer_store_dwordx2 v[122:123], v16, s[16:19], 0 offen    // 000000004EBC: E0741000 80047A10
	v_cvt_f32_i32_e32 v62, v62                                 // 000000004EC4: 7E7C0B3E
	v_cvt_f32_i32_e32 v63, v63                                 // 000000004EC8: 7E7E0B3F
	v_pk_mul_f32 v[62:63], v[62:63], v[174:175]                // 000000004ECC: D3B1403E 18035D3E
	v_fma_f32 v62, v62, v154, v188                             // 000000004ED4: D1CB003E 06F3353E
	v_fma_f32 v63, v63, v154, v189                             // 000000004EDC: D1CB003F 06F7353F
	v_perm_b32 v124, v63, v62, s45                             // 000000004EE4: D1ED007C 00B67D3F
	v_cvt_f32_i32_e32 v64, v64                                 // 000000004EEC: 7E800B40
	v_cvt_f32_i32_e32 v65, v65                                 // 000000004EF0: 7E820B41
	v_pk_mul_f32 v[64:65], v[64:65], v[176:177]                // 000000004EF4: D3B14040 18036140
	v_fma_f32 v64, v64, v154, v190                             // 000000004EFC: D1CB0040 06FB3540
	v_fma_f32 v65, v65, v154, v191                             // 000000004F04: D1CB0041 06FF3541
	v_perm_b32 v125, v65, v64, s45                             // 000000004F0C: D1ED007D 00B68141
	buffer_store_dwordx2 v[124:125], v16, s[16:19], 0 offen offset:32// 000000004F14: E0741020 80047C10
	v_cvt_f32_i32_e32 v66, v66                                 // 000000004F1C: 7E840B42
	v_cvt_f32_i32_e32 v67, v67                                 // 000000004F20: 7E860B43
	v_pk_mul_f32 v[66:67], v[66:67], v[170:171]                // 000000004F24: D3B14042 18035542
	v_fma_f32 v66, v66, v155, v184                             // 000000004F2C: D1CB0042 06E33742
	v_fma_f32 v67, v67, v155, v185                             // 000000004F34: D1CB0043 06E73743
	v_perm_b32 v126, v67, v66, s45                             // 000000004F3C: D1ED007E 00B68543
	v_cvt_f32_i32_e32 v68, v68                                 // 000000004F44: 7E880B44
	v_cvt_f32_i32_e32 v69, v69                                 // 000000004F48: 7E8A0B45
	v_pk_mul_f32 v[68:69], v[68:69], v[172:173]                // 000000004F4C: D3B14044 18035944
	v_fma_f32 v68, v68, v155, v186                             // 000000004F54: D1CB0044 06EB3744
	v_fma_f32 v69, v69, v155, v187                             // 000000004F5C: D1CB0045 06EF3745
	v_perm_b32 v127, v69, v68, s45                             // 000000004F64: D1ED007F 00B68945
	buffer_store_dwordx2 v[126:127], v17, s[16:19], 0 offen    // 000000004F6C: E0741000 80047E11
	v_cvt_f32_i32_e32 v70, v70                                 // 000000004F74: 7E8C0B46
	v_cvt_f32_i32_e32 v71, v71                                 // 000000004F78: 7E8E0B47
	v_pk_mul_f32 v[70:71], v[70:71], v[174:175]                // 000000004F7C: D3B14046 18035D46
	v_fma_f32 v70, v70, v155, v188                             // 000000004F84: D1CB0046 06F33746
	v_fma_f32 v71, v71, v155, v189                             // 000000004F8C: D1CB0047 06F73747
	v_perm_b32 v128, v71, v70, s45                             // 000000004F94: D1ED0080 00B68D47
	v_cvt_f32_i32_e32 v72, v72                                 // 000000004F9C: 7E900B48
	v_cvt_f32_i32_e32 v73, v73                                 // 000000004FA0: 7E920B49
	v_pk_mul_f32 v[72:73], v[72:73], v[176:177]                // 000000004FA4: D3B14048 18036148
	v_fma_f32 v72, v72, v155, v190                             // 000000004FAC: D1CB0048 06FB3748
	v_fma_f32 v73, v73, v155, v191                             // 000000004FB4: D1CB0049 06FF3749
	v_perm_b32 v129, v73, v72, s45                             // 000000004FBC: D1ED0081 00B69149
	buffer_store_dwordx2 v[128:129], v17, s[16:19], 0 offen offset:32// 000000004FC4: E0741020 80048011
	v_cvt_f32_i32_e32 v74, v74                                 // 000000004FCC: 7E940B4A
	v_cvt_f32_i32_e32 v75, v75                                 // 000000004FD0: 7E960B4B
	v_pk_mul_f32 v[74:75], v[74:75], v[170:171]                // 000000004FD4: D3B1404A 1803554A
	v_fma_f32 v74, v74, v156, v184                             // 000000004FDC: D1CB004A 06E3394A
	v_fma_f32 v75, v75, v156, v185                             // 000000004FE4: D1CB004B 06E7394B
	v_perm_b32 v130, v75, v74, s45                             // 000000004FEC: D1ED0082 00B6954B
	v_cvt_f32_i32_e32 v76, v76                                 // 000000004FF4: 7E980B4C
	v_cvt_f32_i32_e32 v77, v77                                 // 000000004FF8: 7E9A0B4D
	v_pk_mul_f32 v[76:77], v[76:77], v[172:173]                // 000000004FFC: D3B1404C 1803594C
	v_fma_f32 v76, v76, v156, v186                             // 000000005004: D1CB004C 06EB394C
	v_fma_f32 v77, v77, v156, v187                             // 00000000500C: D1CB004D 06EF394D
	v_perm_b32 v131, v77, v76, s45                             // 000000005014: D1ED0083 00B6994D
	buffer_store_dwordx2 v[130:131], v18, s[16:19], 0 offen    // 00000000501C: E0741000 80048212
	v_cvt_f32_i32_e32 v78, v78                                 // 000000005024: 7E9C0B4E
	v_cvt_f32_i32_e32 v79, v79                                 // 000000005028: 7E9E0B4F
	v_pk_mul_f32 v[78:79], v[78:79], v[174:175]                // 00000000502C: D3B1404E 18035D4E
	v_fma_f32 v78, v78, v156, v188                             // 000000005034: D1CB004E 06F3394E
	v_fma_f32 v79, v79, v156, v189                             // 00000000503C: D1CB004F 06F7394F
	v_perm_b32 v132, v79, v78, s45                             // 000000005044: D1ED0084 00B69D4F
	v_cvt_f32_i32_e32 v80, v80                                 // 00000000504C: 7EA00B50
	v_cvt_f32_i32_e32 v81, v81                                 // 000000005050: 7EA20B51
	v_pk_mul_f32 v[80:81], v[80:81], v[176:177]                // 000000005054: D3B14050 18036150
	v_fma_f32 v80, v80, v156, v190                             // 00000000505C: D1CB0050 06FB3950
	v_fma_f32 v81, v81, v156, v191                             // 000000005064: D1CB0051 06FF3951
	v_perm_b32 v133, v81, v80, s45                             // 00000000506C: D1ED0085 00B6A151
	buffer_store_dwordx2 v[132:133], v18, s[16:19], 0 offen offset:32// 000000005074: E0741020 80048412
	v_cvt_f32_i32_e32 v82, v82                                 // 00000000507C: 7EA40B52
	v_cvt_f32_i32_e32 v83, v83                                 // 000000005080: 7EA60B53
	v_pk_mul_f32 v[82:83], v[82:83], v[170:171]                // 000000005084: D3B14052 18035552
	v_fma_f32 v82, v82, v157, v184                             // 00000000508C: D1CB0052 06E33B52
	v_fma_f32 v83, v83, v157, v185                             // 000000005094: D1CB0053 06E73B53
	v_perm_b32 v134, v83, v82, s45                             // 00000000509C: D1ED0086 00B6A553
	v_cvt_f32_i32_e32 v84, v84                                 // 0000000050A4: 7EA80B54
	v_cvt_f32_i32_e32 v85, v85                                 // 0000000050A8: 7EAA0B55
	v_pk_mul_f32 v[84:85], v[84:85], v[172:173]                // 0000000050AC: D3B14054 18035954
	v_fma_f32 v84, v84, v157, v186                             // 0000000050B4: D1CB0054 06EB3B54
	v_fma_f32 v85, v85, v157, v187                             // 0000000050BC: D1CB0055 06EF3B55
	v_perm_b32 v135, v85, v84, s45                             // 0000000050C4: D1ED0087 00B6A955
	buffer_store_dwordx2 v[134:135], v19, s[16:19], 0 offen    // 0000000050CC: E0741000 80048613
	v_cvt_f32_i32_e32 v86, v86                                 // 0000000050D4: 7EAC0B56
	v_cvt_f32_i32_e32 v87, v87                                 // 0000000050D8: 7EAE0B57
	v_pk_mul_f32 v[86:87], v[86:87], v[174:175]                // 0000000050DC: D3B14056 18035D56
	v_fma_f32 v86, v86, v157, v188                             // 0000000050E4: D1CB0056 06F33B56
	v_fma_f32 v87, v87, v157, v189                             // 0000000050EC: D1CB0057 06F73B57
	v_perm_b32 v136, v87, v86, s45                             // 0000000050F4: D1ED0088 00B6AD57
	v_cvt_f32_i32_e32 v88, v88                                 // 0000000050FC: 7EB00B58
	v_cvt_f32_i32_e32 v89, v89                                 // 000000005100: 7EB20B59
	v_pk_mul_f32 v[88:89], v[88:89], v[176:177]                // 000000005104: D3B14058 18036158
	v_fma_f32 v88, v88, v157, v190                             // 00000000510C: D1CB0058 06FB3B58
	v_fma_f32 v89, v89, v157, v191                             // 000000005114: D1CB0059 06FF3B59
	v_perm_b32 v137, v89, v88, s45                             // 00000000511C: D1ED0089 00B6B159
	buffer_store_dwordx2 v[136:137], v19, s[16:19], 0 offen offset:32// 000000005124: E0741020 80048813
	v_cvt_f32_i32_e32 v90, v90                                 // 00000000512C: 7EB40B5A
	v_cvt_f32_i32_e32 v91, v91                                 // 000000005130: 7EB60B5B
	v_pk_mul_f32 v[90:91], v[90:91], v[170:171]                // 000000005134: D3B1405A 1803555A
	v_fma_f32 v90, v90, v158, v184                             // 00000000513C: D1CB005A 06E33D5A
	v_fma_f32 v91, v91, v158, v185                             // 000000005144: D1CB005B 06E73D5B
	v_perm_b32 v138, v91, v90, s45                             // 00000000514C: D1ED008A 00B6B55B
	v_cvt_f32_i32_e32 v92, v92                                 // 000000005154: 7EB80B5C
	v_cvt_f32_i32_e32 v93, v93                                 // 000000005158: 7EBA0B5D
	v_pk_mul_f32 v[92:93], v[92:93], v[172:173]                // 00000000515C: D3B1405C 1803595C
	v_fma_f32 v92, v92, v158, v186                             // 000000005164: D1CB005C 06EB3D5C
	v_fma_f32 v93, v93, v158, v187                             // 00000000516C: D1CB005D 06EF3D5D
	v_perm_b32 v139, v93, v92, s45                             // 000000005174: D1ED008B 00B6B95D
	buffer_store_dwordx2 v[138:139], v20, s[16:19], 0 offen    // 00000000517C: E0741000 80048A14
	v_cvt_f32_i32_e32 v94, v94                                 // 000000005184: 7EBC0B5E
	v_cvt_f32_i32_e32 v95, v95                                 // 000000005188: 7EBE0B5F
	v_pk_mul_f32 v[94:95], v[94:95], v[174:175]                // 00000000518C: D3B1405E 18035D5E
	v_fma_f32 v94, v94, v158, v188                             // 000000005194: D1CB005E 06F33D5E
	v_fma_f32 v95, v95, v158, v189                             // 00000000519C: D1CB005F 06F73D5F
	v_perm_b32 v140, v95, v94, s45                             // 0000000051A4: D1ED008C 00B6BD5F
	v_cvt_f32_i32_e32 v96, v96                                 // 0000000051AC: 7EC00B60
	v_cvt_f32_i32_e32 v97, v97                                 // 0000000051B0: 7EC20B61
	v_pk_mul_f32 v[96:97], v[96:97], v[176:177]                // 0000000051B4: D3B14060 18036160
	v_fma_f32 v96, v96, v158, v190                             // 0000000051BC: D1CB0060 06FB3D60
	v_fma_f32 v97, v97, v158, v191                             // 0000000051C4: D1CB0061 06FF3D61
	v_perm_b32 v141, v97, v96, s45                             // 0000000051CC: D1ED008D 00B6C161
	buffer_store_dwordx2 v[140:141], v20, s[16:19], 0 offen offset:32// 0000000051D4: E0741020 80048C14
	v_cvt_f32_i32_e32 v98, v98                                 // 0000000051DC: 7EC40B62
	v_cvt_f32_i32_e32 v99, v99                                 // 0000000051E0: 7EC60B63
	v_pk_mul_f32 v[98:99], v[98:99], v[170:171]                // 0000000051E4: D3B14062 18035562
	v_fma_f32 v98, v98, v159, v184                             // 0000000051EC: D1CB0062 06E33F62
	v_fma_f32 v99, v99, v159, v185                             // 0000000051F4: D1CB0063 06E73F63
	v_perm_b32 v142, v99, v98, s45                             // 0000000051FC: D1ED008E 00B6C563
	v_cvt_f32_i32_e32 v100, v100                               // 000000005204: 7EC80B64
	v_cvt_f32_i32_e32 v101, v101                               // 000000005208: 7ECA0B65
	v_pk_mul_f32 v[100:101], v[100:101], v[172:173]            // 00000000520C: D3B14064 18035964
	v_fma_f32 v100, v100, v159, v186                           // 000000005214: D1CB0064 06EB3F64
	v_fma_f32 v101, v101, v159, v187                           // 00000000521C: D1CB0065 06EF3F65
	v_perm_b32 v143, v101, v100, s45                           // 000000005224: D1ED008F 00B6C965
	buffer_store_dwordx2 v[142:143], v21, s[16:19], 0 offen    // 00000000522C: E0741000 80048E15
	v_cvt_f32_i32_e32 v102, v102                               // 000000005234: 7ECC0B66
	v_cvt_f32_i32_e32 v103, v103                               // 000000005238: 7ECE0B67
	v_pk_mul_f32 v[102:103], v[102:103], v[174:175]            // 00000000523C: D3B14066 18035D66
	v_fma_f32 v102, v102, v159, v188                           // 000000005244: D1CB0066 06F33F66
	v_fma_f32 v103, v103, v159, v189                           // 00000000524C: D1CB0067 06F73F67
	v_perm_b32 v144, v103, v102, s45                           // 000000005254: D1ED0090 00B6CD67
	v_cvt_f32_i32_e32 v104, v104                               // 00000000525C: 7ED00B68
	v_cvt_f32_i32_e32 v105, v105                               // 000000005260: 7ED20B69
	v_pk_mul_f32 v[104:105], v[104:105], v[176:177]            // 000000005264: D3B14068 18036168
	v_fma_f32 v104, v104, v159, v190                           // 00000000526C: D1CB0068 06FB3F68
	v_fma_f32 v105, v105, v159, v191                           // 000000005274: D1CB0069 06FF3F69
	v_perm_b32 v145, v105, v104, s45                           // 00000000527C: D1ED0091 00B6D169
	buffer_store_dwordx2 v[144:145], v21, s[16:19], 0 offen offset:32// 000000005284: E0741020 80049015
	v_cvt_f32_i32_e32 v106, v106                               // 00000000528C: 7ED40B6A
	v_cvt_f32_i32_e32 v107, v107                               // 000000005290: 7ED60B6B
	v_pk_mul_f32 v[106:107], v[106:107], v[170:171]            // 000000005294: D3B1406A 1803556A
	v_fma_f32 v106, v106, v160, v184                           // 00000000529C: D1CB006A 06E3416A
	v_fma_f32 v107, v107, v160, v185                           // 0000000052A4: D1CB006B 06E7416B
	v_perm_b32 v146, v107, v106, s45                           // 0000000052AC: D1ED0092 00B6D56B
	v_cvt_f32_i32_e32 v108, v108                               // 0000000052B4: 7ED80B6C
	v_cvt_f32_i32_e32 v109, v109                               // 0000000052B8: 7EDA0B6D
	v_pk_mul_f32 v[108:109], v[108:109], v[172:173]            // 0000000052BC: D3B1406C 1803596C
	v_fma_f32 v108, v108, v160, v186                           // 0000000052C4: D1CB006C 06EB416C
	v_fma_f32 v109, v109, v160, v187                           // 0000000052CC: D1CB006D 06EF416D
	v_perm_b32 v147, v109, v108, s45                           // 0000000052D4: D1ED0093 00B6D96D
	buffer_store_dwordx2 v[146:147], v22, s[16:19], 0 offen    // 0000000052DC: E0741000 80049216
	v_cvt_f32_i32_e32 v110, v110                               // 0000000052E4: 7EDC0B6E
	v_cvt_f32_i32_e32 v111, v111                               // 0000000052E8: 7EDE0B6F
	v_pk_mul_f32 v[110:111], v[110:111], v[174:175]            // 0000000052EC: D3B1406E 18035D6E
	v_fma_f32 v110, v110, v160, v188                           // 0000000052F4: D1CB006E 06F3416E
	v_fma_f32 v111, v111, v160, v189                           // 0000000052FC: D1CB006F 06F7416F
	v_perm_b32 v148, v111, v110, s45                           // 000000005304: D1ED0094 00B6DD6F
	v_cvt_f32_i32_e32 v112, v112                               // 00000000530C: 7EE00B70
	v_cvt_f32_i32_e32 v113, v113                               // 000000005310: 7EE20B71
	v_pk_mul_f32 v[112:113], v[112:113], v[176:177]            // 000000005314: D3B14070 18036170
	v_fma_f32 v112, v112, v160, v190                           // 00000000531C: D1CB0070 06FB4170
	v_fma_f32 v113, v113, v160, v191                           // 000000005324: D1CB0071 06FF4171
	v_perm_b32 v149, v113, v112, s45                           // 00000000532C: D1ED0095 00B6E171
	buffer_store_dwordx2 v[148:149], v22, s[16:19], 0 offen offset:32// 000000005334: E0741020 80049416
	v_cvt_f32_i32_e32 v114, v114                               // 00000000533C: 7EE40B72
	v_cvt_f32_i32_e32 v115, v115                               // 000000005340: 7EE60B73
	v_pk_mul_f32 v[114:115], v[114:115], v[170:171]            // 000000005344: D3B14072 18035572
	v_fma_f32 v114, v114, v161, v184                           // 00000000534C: D1CB0072 06E34372
	v_fma_f32 v115, v115, v161, v185                           // 000000005354: D1CB0073 06E74373
	v_perm_b32 v150, v115, v114, s45                           // 00000000535C: D1ED0096 00B6E573
	v_cvt_f32_i32_e32 v116, v116                               // 000000005364: 7EE80B74
	v_cvt_f32_i32_e32 v117, v117                               // 000000005368: 7EEA0B75
	v_pk_mul_f32 v[116:117], v[116:117], v[172:173]            // 00000000536C: D3B14074 18035974
	v_fma_f32 v116, v116, v161, v186                           // 000000005374: D1CB0074 06EB4374
	v_fma_f32 v117, v117, v161, v187                           // 00000000537C: D1CB0075 06EF4375
	v_perm_b32 v151, v117, v116, s45                           // 000000005384: D1ED0097 00B6E975
	buffer_store_dwordx2 v[150:151], v23, s[16:19], 0 offen    // 00000000538C: E0741000 80049617
	v_cvt_f32_i32_e32 v118, v118                               // 000000005394: 7EEC0B76
	v_cvt_f32_i32_e32 v119, v119                               // 000000005398: 7EEE0B77
	v_pk_mul_f32 v[118:119], v[118:119], v[174:175]            // 00000000539C: D3B14076 18035D76
	v_fma_f32 v118, v118, v161, v188                           // 0000000053A4: D1CB0076 06F34376
	v_fma_f32 v119, v119, v161, v189                           // 0000000053AC: D1CB0077 06F74377
	v_perm_b32 v152, v119, v118, s45                           // 0000000053B4: D1ED0098 00B6ED77
	v_cvt_f32_i32_e32 v120, v120                               // 0000000053BC: 7EF00B78
	v_cvt_f32_i32_e32 v121, v121                               // 0000000053C0: 7EF20B79
	v_pk_mul_f32 v[120:121], v[120:121], v[176:177]            // 0000000053C4: D3B14078 18036178
	v_fma_f32 v120, v120, v161, v190                           // 0000000053CC: D1CB0078 06FB4378
	v_fma_f32 v121, v121, v161, v191                           // 0000000053D4: D1CB0079 06FF4379
	v_perm_b32 v153, v121, v120, s45                           // 0000000053DC: D1ED0099 00B6F179
	buffer_store_dwordx2 v[152:153], v23, s[16:19], 0 offen offset:32// 0000000053E4: E0741020 80049817

00000000000053ec <label_0CFB>:
	s_waitcnt vmcnt(0) expcnt(0) lgkmcnt(0)                    // 0000000053EC: BF8C0000
	s_endpgm                                                   // 0000000053F0: BF810000
